;; amdgpu-corpus repo=ROCm/rocFFT kind=compiled arch=gfx906 opt=O3
	.text
	.amdgcn_target "amdgcn-amd-amdhsa--gfx906"
	.amdhsa_code_object_version 6
	.protected	bluestein_single_back_len1248_dim1_sp_op_CI_CI ; -- Begin function bluestein_single_back_len1248_dim1_sp_op_CI_CI
	.globl	bluestein_single_back_len1248_dim1_sp_op_CI_CI
	.p2align	8
	.type	bluestein_single_back_len1248_dim1_sp_op_CI_CI,@function
bluestein_single_back_len1248_dim1_sp_op_CI_CI: ; @bluestein_single_back_len1248_dim1_sp_op_CI_CI
; %bb.0:
	s_load_dwordx4 s[16:19], s[4:5], 0x28
	s_mov_b64 s[22:23], s[2:3]
	v_mul_u32_u24_e32 v1, 0x4ed, v0
	s_mov_b64 s[20:21], s[0:1]
	v_add_u32_sdwa v108, s6, v1 dst_sel:DWORD dst_unused:UNUSED_PAD src0_sel:DWORD src1_sel:WORD_1
	v_mov_b32_e32 v109, 0
	s_add_u32 s20, s20, s7
	s_waitcnt lgkmcnt(0)
	v_cmp_gt_u64_e32 vcc, s[16:17], v[108:109]
	s_addc_u32 s21, s21, 0
	s_and_saveexec_b64 s[0:1], vcc
	s_cbranch_execz .LBB0_10
; %bb.1:
	s_load_dwordx4 s[8:11], s[4:5], 0x18
	s_load_dwordx4 s[12:15], s[4:5], 0x0
	v_mov_b32_e32 v2, 52
	v_mul_lo_u16_sdwa v1, v1, v2 dst_sel:DWORD dst_unused:UNUSED_PAD src0_sel:WORD_1 src1_sel:DWORD
	v_sub_u16_e32 v208, v0, v1
	s_waitcnt lgkmcnt(0)
	s_load_dwordx4 s[0:3], s[8:9], 0x0
	v_lshlrev_b32_e32 v207, 3, v208
	global_load_dwordx2 v[121:122], v207, s[12:13]
	v_or_b32_e32 v254, 0x340, v208
	v_lshlrev_b32_e32 v227, 3, v254
	s_waitcnt lgkmcnt(0)
	v_mad_u64_u32 v[0:1], s[6:7], s2, v108, 0
	v_mad_u64_u32 v[2:3], s[6:7], s0, v208, 0
	s_movk_i32 s6, 0x1000
	s_mul_hi_u32 s7, s0, 0xffffee20
	v_mad_u64_u32 v[4:5], s[2:3], s3, v108, v[1:2]
	s_sub_i32 s7, s7, s0
	v_add_u32_e32 v61, 0x2000, v207
	v_mad_u64_u32 v[5:6], s[2:3], s1, v208, v[3:4]
	v_mov_b32_e32 v1, v4
	v_lshlrev_b64 v[0:1], 3, v[0:1]
	v_mov_b32_e32 v6, s19
	v_mov_b32_e32 v3, v5
	v_add_co_u32_e32 v24, vcc, s18, v0
	v_addc_co_u32_e32 v25, vcc, v6, v1, vcc
	v_lshlrev_b64 v[0:1], 3, v[2:3]
	v_mov_b32_e32 v2, s13
	v_add_co_u32_e32 v0, vcc, v24, v0
	v_addc_co_u32_e32 v1, vcc, v25, v1, vcc
	v_add_co_u32_e32 v30, vcc, s12, v207
	s_mul_i32 s2, s1, 0x1380
	s_mul_hi_u32 s3, s0, 0x1380
	v_addc_co_u32_e32 v31, vcc, 0, v2, vcc
	s_add_i32 s2, s3, s2
	s_mul_i32 s3, s0, 0x1380
	v_mov_b32_e32 v3, s2
	v_add_co_u32_e32 v2, vcc, s3, v0
	v_addc_co_u32_e32 v3, vcc, v1, v3, vcc
	v_add_co_u32_e32 v8, vcc, s6, v30
	s_mul_i32 s6, s1, 0xffffee20
	v_addc_co_u32_e32 v9, vcc, 0, v31, vcc
	s_add_i32 s6, s7, s6
	s_mul_i32 s7, s0, 0xffffee20
	global_load_dwordx2 v[4:5], v[0:1], off
	global_load_dwordx2 v[6:7], v[2:3], off
	v_mov_b32_e32 v1, s6
	v_add_co_u32_e32 v0, vcc, s7, v2
	v_addc_co_u32_e32 v1, vcc, v3, v1, vcc
	global_load_dwordx2 v[119:120], v[8:9], off offset:896
	global_load_dwordx2 v[115:116], v207, s[12:13] offset:416
	v_mov_b32_e32 v3, s2
	v_add_co_u32_e32 v2, vcc, s3, v0
	v_addc_co_u32_e32 v3, vcc, v1, v3, vcc
	global_load_dwordx2 v[10:11], v[0:1], off
	global_load_dwordx2 v[12:13], v[2:3], off
	global_load_dwordx2 v[111:112], v[8:9], off offset:1312
	v_mov_b32_e32 v1, s6
	v_add_co_u32_e32 v0, vcc, s7, v2
	v_addc_co_u32_e32 v1, vcc, v3, v1, vcc
	global_load_dwordx2 v[2:3], v[0:1], off
	global_load_dwordx2 v[109:110], v207, s[12:13] offset:832
	v_mov_b32_e32 v14, s2
	v_add_co_u32_e32 v0, vcc, s3, v0
	v_addc_co_u32_e32 v1, vcc, v1, v14, vcc
	global_load_dwordx2 v[14:15], v[0:1], off
	global_load_dwordx2 v[106:107], v[8:9], off offset:1728
	v_mov_b32_e32 v16, s6
	v_add_co_u32_e32 v0, vcc, s7, v0
	v_addc_co_u32_e32 v1, vcc, v1, v16, vcc
	global_load_dwordx2 v[16:17], v[0:1], off
	global_load_dwordx2 v[104:105], v207, s[12:13] offset:1248
	v_mov_b32_e32 v18, s2
	v_add_co_u32_e32 v0, vcc, s3, v0
	v_addc_co_u32_e32 v1, vcc, v1, v18, vcc
	v_mov_b32_e32 v21, s6
	v_add_co_u32_e32 v20, vcc, s7, v0
	global_load_dwordx2 v[18:19], v[0:1], off
	v_addc_co_u32_e32 v21, vcc, v1, v21, vcc
	global_load_dwordx2 v[22:23], v[20:21], off
	s_load_dwordx4 s[8:11], s[10:11], 0x0
	global_load_dwordx2 v[98:99], v[8:9], off offset:64
	global_load_dwordx2 v[96:97], v[8:9], off offset:480
	v_mov_b32_e32 v26, s2
	v_mov_b32_e32 v28, s2
	;; [unrolled: 1-line block ×8, first 2 shown]
	v_add_u32_e32 v62, 0x1400, v207
	v_lshlrev_b32_e32 v206, 4, v208
	v_and_b32_e32 v63, 1, v208
	v_lshlrev_b32_e32 v173, 1, v208
                                        ; implicit-def: $vgpr76
	s_waitcnt vmcnt(16)
	v_mul_f32_e32 v0, v5, v122
	v_mul_f32_e32 v1, v4, v122
	v_fmac_f32_e32 v0, v4, v121
	v_fma_f32 v1, v5, v121, -v1
	s_waitcnt vmcnt(14)
	v_mul_f32_e32 v4, v7, v120
	v_mul_f32_e32 v5, v6, v120
	v_fmac_f32_e32 v4, v6, v119
	v_fma_f32 v5, v7, v119, -v5
	ds_write_b64 v207, v[4:5] offset:4992
	s_waitcnt vmcnt(12)
	v_mul_f32_e32 v4, v11, v116
	v_mul_f32_e32 v5, v10, v116
	v_fmac_f32_e32 v4, v10, v115
	v_fma_f32 v5, v11, v115, -v5
	ds_write2_b64 v207, v[0:1], v[4:5] offset1:52
	s_waitcnt vmcnt(10)
	v_mul_f32_e32 v0, v12, v112
	v_fma_f32 v5, v13, v111, -v0
	v_mul_f32_e32 v4, v13, v112
	s_waitcnt vmcnt(8)
	v_mul_f32_e32 v1, v3, v110
	v_mul_f32_e32 v0, v2, v110
	v_fmac_f32_e32 v1, v2, v109
	v_fma_f32 v2, v3, v109, -v0
	v_fmac_f32_e32 v4, v12, v111
	global_load_dwordx2 v[141:142], v[8:9], off offset:2144
	global_load_dwordx2 v[133:134], v[8:9], off offset:2976
	;; [unrolled: 1-line block ×3, first 2 shown]
	s_waitcnt vmcnt(9)
	v_mul_f32_e32 v6, v15, v107
	v_mul_f32_e32 v0, v14, v107
	v_fmac_f32_e32 v6, v14, v106
	v_fma_f32 v7, v15, v106, -v0
	v_add_u32_e32 v0, 0x1000, v207
	ds_write2_b64 v0, v[4:5], v[6:7] offset0:164 offset1:216
	v_mad_u64_u32 v[3:4], s[16:17], s0, v254, 0
	s_waitcnt vmcnt(7)
	v_mul_f32_e32 v5, v17, v105
	v_fmac_f32_e32 v5, v16, v104
	v_mad_u64_u32 v[6:7], s[16:17], s1, v254, v[4:5]
	global_load_dwordx2 v[143:144], v207, s[12:13] offset:1664
	global_load_dwordx2 v[137:138], v207, s[12:13] offset:2080
	;; [unrolled: 1-line block ×4, first 2 shown]
	v_mov_b32_e32 v12, s2
	v_mov_b32_e32 v4, v6
	;; [unrolled: 1-line block ×3, first 2 shown]
	v_mad_u64_u32 v[6:7], s[16:17], s0, v6, v[20:21]
	v_lshlrev_b64 v[3:4], 3, v[3:4]
	s_mul_i32 s0, s1, 0x1a0
	v_add_co_u32_e32 v3, vcc, v24, v3
	v_addc_co_u32_e32 v4, vcc, v25, v4, vcc
	v_add_u32_e32 v7, s0, v7
	global_load_dwordx2 v[10:11], v[6:7], off
	v_add_co_u32_e32 v6, vcc, s3, v6
	v_addc_co_u32_e32 v7, vcc, v7, v12, vcc
	global_load_dwordx2 v[12:13], v[6:7], off
	v_mov_b32_e32 v14, s6
	v_add_co_u32_e32 v6, vcc, s7, v6
	v_addc_co_u32_e32 v7, vcc, v7, v14, vcc
	global_load_dwordx2 v[14:15], v[6:7], off
	v_mov_b32_e32 v20, s2
	;; [unrolled: 4-line block ×3, first 2 shown]
	v_add_co_u32_e32 v6, vcc, s7, v6
	v_addc_co_u32_e32 v7, vcc, v7, v24, vcc
	global_load_dwordx2 v[24:25], v[6:7], off
	v_add_co_u32_e32 v6, vcc, s3, v6
	v_addc_co_u32_e32 v7, vcc, v7, v26, vcc
	global_load_dwordx2 v[3:4], v[3:4], off
	s_movk_i32 s0, 0x2000
	global_load_dwordx2 v[139:140], v227, s[12:13]
	global_load_dwordx2 v[26:27], v[6:7], off
	global_load_dwordx2 v[131:132], v[8:9], off offset:3808
	v_mov_b32_e32 v8, s6
	v_add_co_u32_e32 v6, vcc, s7, v6
	v_addc_co_u32_e32 v7, vcc, v7, v8, vcc
	global_load_dwordx2 v[8:9], v[6:7], off
	v_add_co_u32_e32 v6, vcc, s3, v6
	v_addc_co_u32_e32 v7, vcc, v7, v28, vcc
	v_add_co_u32_e32 v30, vcc, s0, v30
	v_addc_co_u32_e32 v31, vcc, 0, v31, vcc
	global_load_dwordx2 v[28:29], v[6:7], off
	v_add_co_u32_e32 v6, vcc, s7, v6
	v_addc_co_u32_e32 v7, vcc, v7, v32, vcc
	global_load_dwordx2 v[123:124], v[30:31], off offset:128
	global_load_dwordx2 v[32:33], v[6:7], off
	global_load_dwordx2 v[129:130], v207, s[12:13] offset:3328
	global_load_dwordx2 v[117:118], v207, s[12:13] offset:3744
	v_add_co_u32_e32 v6, vcc, s3, v6
	v_addc_co_u32_e32 v7, vcc, v7, v34, vcc
	global_load_dwordx2 v[34:35], v[6:7], off
	global_load_dwordx2 v[113:114], v[30:31], off offset:544
	v_add_co_u32_e32 v6, vcc, s7, v6
	v_addc_co_u32_e32 v7, vcc, v7, v36, vcc
	global_load_dwordx2 v[36:37], v[6:7], off
	v_add_co_u32_e32 v6, vcc, s3, v6
	v_addc_co_u32_e32 v7, vcc, v7, v38, vcc
	global_load_dwordx2 v[38:39], v[6:7], off
	global_load_dwordx2 v[102:103], v[30:31], off offset:960
	v_add_co_u32_e32 v6, vcc, s7, v6
	v_addc_co_u32_e32 v7, vcc, v7, v40, vcc
	global_load_dwordx2 v[40:41], v[6:7], off
	v_add_co_u32_e32 v6, vcc, s3, v6
	v_addc_co_u32_e32 v7, vcc, v7, v42, vcc
	global_load_dwordx2 v[42:43], v[6:7], off
	global_load_dwordx2 v[100:101], v[30:31], off offset:1376
	v_mul_f32_e32 v16, v16, v105
	v_fma_f32 v6, v17, v104, -v16
	ds_write2_b64 v207, v[1:2], v[5:6] offset0:104 offset1:156
	s_waitcnt vmcnt(29)
	v_mul_f32_e32 v1, v18, v142
	v_fma_f32 v6, v19, v141, -v1
	s_waitcnt vmcnt(26)
	v_mul_f32_e32 v1, v22, v144
	v_mul_f32_e32 v5, v19, v142
	v_fma_f32 v17, v23, v143, -v1
	v_fmac_f32_e32 v5, v18, v141
	v_mul_f32_e32 v16, v23, v144
	v_fmac_f32_e32 v16, v22, v143
	s_movk_i32 s0, 0x68
	v_add_co_u32_e32 v145, vcc, 52, v208
	v_add_co_u32_e32 v147, vcc, s0, v208
	s_movk_i32 s0, 0x9c
	v_add_co_u32_e32 v149, vcc, s0, v208
	s_waitcnt vmcnt(19)
	v_mul_f32_e32 v7, v20, v126
	s_movk_i32 s0, 0xd0
	v_lshlrev_b32_e32 v79, 4, v145
	v_add_co_u32_e32 v172, vcc, s0, v208
	s_movk_i32 s0, 0x104
	v_add_co_u32_e32 v171, vcc, s0, v208
	s_movk_i32 s0, 0x138
	;; [unrolled: 2-line block ×3, first 2 shown]
	v_add_co_u32_e32 v169, vcc, s0, v208
	s_waitcnt vmcnt(16)
	v_mul_f32_e32 v2, v4, v140
	v_mul_f32_e32 v1, v3, v140
	v_fmac_f32_e32 v2, v3, v139
	v_fma_f32 v3, v4, v139, -v1
	v_add_u32_e32 v1, 0x1800, v207
	ds_write2_b64 v1, v[5:6], v[2:3] offset0:12 offset1:64
	v_mul_f32_e32 v3, v11, v138
	v_mul_f32_e32 v2, v10, v138
	v_fmac_f32_e32 v3, v10, v137
	v_fma_f32 v4, v11, v137, -v2
	v_add_u32_e32 v2, 0x400, v207
	ds_write2_b64 v2, v[16:17], v[3:4] offset0:80 offset1:132
	v_mul_f32_e32 v3, v13, v134
	v_mul_f32_e32 v4, v12, v134
	;; [unrolled: 1-line block ×3, first 2 shown]
	v_fmac_f32_e32 v3, v12, v133
	v_fma_f32 v4, v13, v133, -v4
	v_fmac_f32_e32 v10, v20, v125
	v_fma_f32 v11, v21, v125, -v7
	v_mul_f32_e32 v5, v15, v136
	v_mul_f32_e32 v6, v14, v136
	ds_write2_b64 v1, v[3:4], v[10:11] offset0:116 offset1:168
	v_mul_f32_e32 v10, v25, v128
	v_mul_f32_e32 v3, v24, v128
	v_fmac_f32_e32 v5, v14, v135
	v_fma_f32 v6, v15, v135, -v6
	v_fmac_f32_e32 v10, v24, v127
	v_fma_f32 v11, v25, v127, -v3
	v_add_u32_e32 v4, 0x800, v207
	s_waitcnt vmcnt(14)
	v_mul_f32_e32 v3, v26, v132
	ds_write2_b64 v4, v[5:6], v[10:11] offset0:56 offset1:108
	v_fma_f32 v6, v27, v131, -v3
	s_waitcnt vmcnt(9)
	v_mul_f32_e32 v7, v9, v130
	v_mul_f32_e32 v3, v8, v130
	;; [unrolled: 1-line block ×3, first 2 shown]
	v_fmac_f32_e32 v7, v8, v129
	v_fma_f32 v8, v9, v129, -v3
	v_mul_f32_e32 v9, v29, v124
	v_mul_f32_e32 v3, v28, v124
	v_fmac_f32_e32 v5, v26, v131
	v_fmac_f32_e32 v9, v28, v123
	v_fma_f32 v10, v29, v123, -v3
	v_add_u32_e32 v3, 0x1c00, v207
	ds_write2_b64 v3, v[5:6], v[9:10] offset0:92 offset1:144
	s_waitcnt vmcnt(8)
	v_mul_f32_e32 v5, v33, v118
	v_mul_f32_e32 v6, v32, v118
	v_fmac_f32_e32 v5, v32, v117
	v_fma_f32 v6, v33, v117, -v6
	ds_write2_b64 v4, v[7:8], v[5:6] offset0:160 offset1:212
	s_waitcnt vmcnt(6)
	v_mul_f32_e32 v5, v35, v114
	v_mul_f32_e32 v6, v34, v114
	s_waitcnt vmcnt(3)
	v_mul_f32_e32 v9, v39, v103
	v_mul_f32_e32 v10, v38, v103
	v_fmac_f32_e32 v5, v34, v113
	v_fma_f32 v6, v35, v113, -v6
	v_fmac_f32_e32 v9, v38, v102
	v_fma_f32 v10, v39, v102, -v10
	v_mul_f32_e32 v7, v37, v99
	v_mul_f32_e32 v8, v36, v99
	ds_write2_b64 v61, v[5:6], v[9:10] offset0:68 offset1:120
	s_waitcnt vmcnt(2)
	v_mul_f32_e32 v5, v41, v97
	v_mul_f32_e32 v6, v40, v97
	v_fmac_f32_e32 v7, v36, v98
	v_fma_f32 v8, v37, v98, -v8
	v_fmac_f32_e32 v5, v40, v96
	v_fma_f32 v6, v41, v96, -v6
	ds_write2_b64 v0, v[7:8], v[5:6] offset0:8 offset1:60
	s_waitcnt vmcnt(0)
	v_mul_f32_e32 v5, v43, v101
	v_mul_f32_e32 v6, v42, v101
	v_fmac_f32_e32 v5, v42, v100
	v_fma_f32 v6, v43, v100, -v6
	ds_write_b64 v207, v[5:6] offset:9568
	s_waitcnt lgkmcnt(0)
	; wave barrier
	s_waitcnt lgkmcnt(0)
	ds_read2_b64 v[5:8], v207 offset1:52
	ds_read2_b64 v[9:12], v0 offset0:112 offset1:164
	ds_read2_b64 v[13:16], v207 offset0:104 offset1:156
	;; [unrolled: 1-line block ×11, first 2 shown]
	s_waitcnt lgkmcnt(0)
	; wave barrier
	s_waitcnt lgkmcnt(0)
	v_sub_f32_e32 v55, v5, v9
	v_sub_f32_e32 v56, v6, v10
	;; [unrolled: 1-line block ×6, first 2 shown]
	v_fma_f32 v53, v5, 2.0, -v55
	v_fma_f32 v54, v6, 2.0, -v56
	;; [unrolled: 1-line block ×6, first 2 shown]
	v_sub_f32_e32 v13, v15, v19
	v_sub_f32_e32 v14, v16, v20
	v_lshlrev_b32_e32 v5, 4, v147
	v_fma_f32 v11, v15, 2.0, -v13
	v_fma_f32 v12, v16, 2.0, -v14
	v_sub_f32_e32 v17, v21, v25
	v_sub_f32_e32 v18, v22, v26
	ds_write_b128 v206, v[53:56]
	ds_write_b128 v79, v[7:10]
	buffer_store_dword v5, off, s[20:23], 0 offset:4 ; 4-byte Folded Spill
	ds_write_b128 v5, v[57:60]
	v_lshlrev_b32_e32 v5, 4, v149
	v_fma_f32 v15, v21, 2.0, -v17
	v_fma_f32 v16, v22, 2.0, -v18
	v_sub_f32_e32 v21, v23, v27
	v_sub_f32_e32 v22, v24, v28
	buffer_store_dword v5, off, s[20:23], 0 offset:8 ; 4-byte Folded Spill
	ds_write_b128 v5, v[11:14]
	v_lshlrev_b32_e32 v5, 4, v172
	v_fma_f32 v19, v23, 2.0, -v21
	v_fma_f32 v20, v24, 2.0, -v22
	v_sub_f32_e32 v25, v29, v33
	v_sub_f32_e32 v26, v30, v34
	;; [unrolled: 7-line block ×3, first 2 shown]
	s_movk_i32 s0, 0x1a0
	buffer_store_dword v5, off, s[20:23], 0 offset:16 ; 4-byte Folded Spill
	ds_write_b128 v5, v[19:22]
	v_lshlrev_b32_e32 v5, 4, v170
	v_fma_f32 v27, v31, 2.0, -v29
	v_fma_f32 v28, v32, 2.0, -v30
	v_sub_f32_e32 v33, v37, v41
	v_sub_f32_e32 v34, v38, v42
	v_add_co_u32_e32 v159, vcc, s0, v208
	s_movk_i32 s0, 0x1d4
	buffer_store_dword v5, off, s[20:23], 0 offset:20 ; 4-byte Folded Spill
	ds_write_b128 v5, v[23:26]
	v_lshlrev_b32_e32 v5, 4, v169
	v_fma_f32 v31, v37, 2.0, -v33
	v_fma_f32 v32, v38, 2.0, -v34
	v_sub_f32_e32 v37, v39, v43
	v_sub_f32_e32 v38, v40, v44
	v_add_co_u32_e32 v161, vcc, s0, v208
	;; [unrolled: 9-line block ×3, first 2 shown]
	s_movk_i32 s0, 0x23c
	buffer_store_dword v5, off, s[20:23], 0 offset:28 ; 4-byte Folded Spill
	ds_write_b128 v5, v[31:34]
	v_lshlrev_b32_e32 v5, 4, v161
	v_sub_f32_e32 v49, v47, v51
	v_sub_f32_e32 v50, v48, v52
	v_fma_f32 v39, v45, 2.0, -v41
	v_fma_f32 v40, v46, 2.0, -v42
	v_add_co_u32_e32 v167, vcc, s0, v208
	buffer_store_dword v5, off, s[20:23], 0 offset:32 ; 4-byte Folded Spill
	ds_write_b128 v5, v[35:38]
	v_lshlrev_b32_e32 v5, 4, v163
	v_fma_f32 v47, v47, 2.0, -v49
	v_fma_f32 v48, v48, 2.0, -v50
	buffer_store_dword v5, off, s[20:23], 0 offset:36 ; 4-byte Folded Spill
	ds_write_b128 v5, v[39:42]
	v_lshlrev_b32_e32 v5, 4, v167
	buffer_store_dword v5, off, s[20:23], 0 offset:40 ; 4-byte Folded Spill
	ds_write_b128 v5, v[47:50]
	v_lshlrev_b32_e32 v5, 3, v63
	s_waitcnt lgkmcnt(0)
	; wave barrier
	s_waitcnt lgkmcnt(0)
	global_load_dwordx2 v[72:73], v5, s[14:15]
	ds_read2_b64 v[5:8], v207 offset1:52
	ds_read2_b64 v[9:12], v0 offset0:112 offset1:164
	ds_read2_b64 v[13:16], v62 offset0:88 offset1:140
	;; [unrolled: 1-line block ×6, first 2 shown]
	s_movk_i32 s0, 0x7c
	s_movk_i32 s1, 0x2fc
	s_load_dwordx2 s[2:3], s[4:5], 0x38
	v_cmp_gt_u16_e32 vcc, 44, v208
	s_waitcnt vmcnt(0) lgkmcnt(0)
	v_mul_f32_e32 v33, v10, v73
	v_fma_f32 v33, v9, v72, -v33
	v_mul_f32_e32 v9, v9, v73
	v_fmac_f32_e32 v9, v10, v72
	v_mul_f32_e32 v10, v12, v73
	v_fma_f32 v34, v11, v72, -v10
	v_mul_f32_e32 v10, v14, v73
	v_fma_f32 v36, v13, v72, -v10
	;; [unrolled: 2-line block ×5, first 2 shown]
	v_mul_f32_e32 v10, v22, v73
	v_mul_f32_e32 v35, v11, v73
	v_fma_f32 v44, v21, v72, -v10
	v_mul_f32_e32 v10, v24, v73
	v_fmac_f32_e32 v35, v12, v72
	v_mul_f32_e32 v37, v13, v73
	v_mul_f32_e32 v41, v17, v73
	v_fma_f32 v60, v23, v72, -v10
	v_mul_f32_e32 v10, v26, v73
	v_fmac_f32_e32 v37, v14, v72
	v_mul_f32_e32 v39, v15, v73
	v_fmac_f32_e32 v41, v18, v72
	v_mul_f32_e32 v43, v19, v73
	v_fma_f32 v62, v25, v72, -v10
	v_mul_f32_e32 v10, v28, v73
	v_sub_f32_e32 v13, v5, v33
	v_sub_f32_e32 v14, v6, v9
	;; [unrolled: 1-line block ×4, first 2 shown]
	v_fmac_f32_e32 v39, v16, v72
	v_fmac_f32_e32 v43, v20, v72
	v_fma_f32 v65, v27, v72, -v10
	v_mul_f32_e32 v10, v30, v73
	v_fma_f32 v15, v5, 2.0, -v13
	v_fma_f32 v16, v6, 2.0, -v14
	;; [unrolled: 1-line block ×4, first 2 shown]
	ds_read2_b64 v[5:8], v2 offset0:80 offset1:132
	v_fma_f32 v67, v29, v72, -v10
	v_mul_f32_e32 v10, v32, v73
	v_fma_f32 v69, v31, v72, -v10
	ds_read2_b64 v[9:12], v207 offset0:104 offset1:156
	s_waitcnt lgkmcnt(1)
	v_sub_f32_e32 v52, v5, v40
	v_sub_f32_e32 v53, v6, v41
	;; [unrolled: 1-line block ×4, first 2 shown]
	v_mul_f32_e32 v45, v21, v73
	v_fma_f32 v56, v5, 2.0, -v52
	v_fma_f32 v57, v6, 2.0, -v53
	v_fma_f32 v58, v7, 2.0, -v54
	v_fma_f32 v59, v8, 2.0, -v55
	ds_read2_b64 v[5:8], v4 offset0:160 offset1:212
	v_fmac_f32_e32 v45, v22, v72
	s_waitcnt lgkmcnt(1)
	v_sub_f32_e32 v21, v9, v36
	v_sub_f32_e32 v22, v10, v37
	;; [unrolled: 1-line block ×4, first 2 shown]
	v_fma_f32 v48, v9, 2.0, -v21
	v_fma_f32 v49, v10, 2.0, -v22
	;; [unrolled: 1-line block ×4, first 2 shown]
	ds_read2_b64 v[9:12], v4 offset0:56 offset1:108
	v_mul_f32_e32 v70, v31, v73
	v_mul_f32_e32 v23, v23, v73
	;; [unrolled: 1-line block ×3, first 2 shown]
	v_fmac_f32_e32 v70, v32, v72
	s_waitcnt lgkmcnt(1)
	v_sub_f32_e32 v32, v5, v62
	v_fmac_f32_e32 v23, v24, v72
	v_mul_f32_e32 v66, v27, v73
	v_fmac_f32_e32 v68, v30, v72
	v_fma_f32 v30, v5, 2.0, -v32
	v_and_or_b32 v5, v173, s0, v63
	v_mul_f32_e32 v64, v25, v73
	v_fmac_f32_e32 v66, v28, v72
	s_waitcnt lgkmcnt(0)
	v_sub_f32_e32 v24, v9, v44
	v_sub_f32_e32 v25, v10, v45
	;; [unrolled: 1-line block ×4, first 2 shown]
	v_lshlrev_b32_e32 v5, 3, v5
	v_fmac_f32_e32 v64, v26, v72
	v_fma_f32 v60, v9, 2.0, -v24
	v_fma_f32 v61, v10, 2.0, -v25
	v_fma_f32 v26, v11, 2.0, -v28
	v_fma_f32 v27, v12, 2.0, -v29
	ds_read2_b64 v[9:12], v0 offset0:8 offset1:60
	s_waitcnt lgkmcnt(0)
	; wave barrier
	s_waitcnt lgkmcnt(0)
	buffer_store_dword v5, off, s[20:23], 0 offset:44 ; 4-byte Folded Spill
	ds_write2_b64 v5, v[15:16], v[13:14] offset1:2
	s_movk_i32 s0, 0xfc
	v_lshlrev_b32_e32 v5, 1, v145
	v_and_or_b32 v5, v5, s0, v63
	v_lshlrev_b32_e32 v5, 3, v5
	buffer_store_dword v5, off, s[20:23], 0 offset:48 ; 4-byte Folded Spill
	ds_write2_b64 v5, v[19:20], v[17:18] offset1:2
	s_movk_i32 s0, 0x1fc
	v_lshlrev_b32_e32 v5, 1, v147
	v_and_or_b32 v5, v5, s0, v63
	v_lshlrev_b32_e32 v5, 3, v5
	buffer_store_dword v5, off, s[20:23], 0 offset:52 ; 4-byte Folded Spill
	ds_write2_b64 v5, v[48:49], v[21:22] offset1:2
	v_lshlrev_b32_e32 v5, 1, v149
	v_and_or_b32 v5, v5, s0, v63
	v_lshlrev_b32_e32 v5, 3, v5
	buffer_store_dword v5, off, s[20:23], 0 offset:56 ; 4-byte Folded Spill
	ds_write2_b64 v5, v[50:51], v[46:47] offset1:2
	s_movk_i32 s0, 0x3fc
	v_lshlrev_b32_e32 v5, 1, v172
	v_and_or_b32 v5, v5, s0, v63
	v_lshlrev_b32_e32 v5, 3, v5
	buffer_store_dword v5, off, s[20:23], 0 offset:60 ; 4-byte Folded Spill
	ds_write2_b64 v5, v[56:57], v[52:53] offset1:2
	v_lshlrev_b32_e32 v5, 1, v171
	v_and_or_b32 v5, v5, s1, v63
	v_lshlrev_b32_e32 v5, 3, v5
	buffer_store_dword v5, off, s[20:23], 0 offset:64 ; 4-byte Folded Spill
	ds_write2_b64 v5, v[58:59], v[54:55] offset1:2
	v_lshlrev_b32_e32 v5, 1, v170
	v_and_or_b32 v5, v5, s1, v63
	v_lshlrev_b32_e32 v5, 3, v5
	v_sub_f32_e32 v33, v6, v64
	buffer_store_dword v5, off, s[20:23], 0 offset:68 ; 4-byte Folded Spill
	ds_write2_b64 v5, v[60:61], v[24:25] offset1:2
	v_lshlrev_b32_e32 v5, 1, v169
	v_sub_f32_e32 v36, v7, v65
	v_fma_f32 v31, v6, 2.0, -v33
	v_and_or_b32 v5, v5, s0, v63
	v_lshlrev_b32_e32 v6, 1, v159
	v_sub_f32_e32 v37, v8, v66
	v_fma_f32 v34, v7, 2.0, -v36
	v_and_or_b32 v6, v6, s0, v63
	s_movk_i32 s0, 0x7fc
	v_lshlrev_b32_e32 v7, 1, v161
	v_lshlrev_b32_e32 v5, 3, v5
	v_fma_f32 v35, v8, 2.0, -v37
	v_sub_f32_e32 v40, v9, v67
	v_and_or_b32 v7, v7, s0, v63
	s_movk_i32 s0, 0x4fc
	v_lshlrev_b32_e32 v8, 1, v163
	buffer_store_dword v5, off, s[20:23], 0 offset:88 ; 4-byte Folded Spill
	ds_write2_b64 v5, v[26:27], v[28:29] offset1:2
	v_lshlrev_b32_e32 v5, 3, v6
	v_sub_f32_e32 v41, v10, v68
	v_fma_f32 v38, v9, 2.0, -v40
	v_and_or_b32 v8, v8, s0, v63
	v_lshlrev_b32_e32 v9, 1, v167
	buffer_store_dword v5, off, s[20:23], 0 offset:84 ; 4-byte Folded Spill
	ds_write2_b64 v5, v[30:31], v[32:33] offset1:2
	v_lshlrev_b32_e32 v5, 3, v7
	v_sub_f32_e32 v44, v11, v69
	v_sub_f32_e32 v45, v12, v70
	v_fma_f32 v39, v10, 2.0, -v41
	v_and_or_b32 v9, v9, s0, v63
	buffer_store_dword v5, off, s[20:23], 0 offset:80 ; 4-byte Folded Spill
	ds_write2_b64 v5, v[34:35], v[36:37] offset1:2
	v_lshlrev_b32_e32 v5, 3, v8
	v_fma_f32 v42, v11, 2.0, -v44
	v_fma_f32 v43, v12, 2.0, -v45
	buffer_store_dword v5, off, s[20:23], 0 offset:76 ; 4-byte Folded Spill
	ds_write2_b64 v5, v[38:39], v[40:41] offset1:2
	v_lshlrev_b32_e32 v5, 3, v9
	buffer_store_dword v5, off, s[20:23], 0 offset:72 ; 4-byte Folded Spill
	ds_write2_b64 v5, v[42:43], v[44:45] offset1:2
	s_waitcnt lgkmcnt(0)
	; wave barrier
	s_waitcnt lgkmcnt(0)
	ds_read_b64 v[74:75], v207 offset:9216
	ds_read2_b64 v[64:67], v4 offset0:128 offset1:224
	ds_read2_b64 v[48:51], v207 offset1:96
	ds_read2_b64 v[68:71], v2 offset0:64 offset1:160
	ds_read2_b64 v[60:63], v0 offset0:64 offset1:160
	ds_read2_b64 v[56:59], v1 offset1:96
	ds_read2_b64 v[52:55], v3 offset0:64 offset1:160
	s_and_saveexec_b64 s[0:1], vcc
	s_cbranch_execz .LBB0_3
; %bb.2:
	ds_read2_b64 v[24:27], v207 offset0:52 offset1:148
	ds_read2_b64 v[28:31], v2 offset0:116 offset1:212
	v_add_u32_e32 v2, 0xc00, v207
	ds_read2_b64 v[32:35], v2 offset0:52 offset1:148
	ds_read2_b64 v[36:39], v0 offset0:116 offset1:212
	;; [unrolled: 1-line block ×4, first 2 shown]
	ds_read_b64 v[76:77], v207 offset:9632
.LBB0_3:
	s_or_b64 exec, exec, s[0:1]
	v_and_b32_e32 v255, 3, v208
	v_mul_u32_u24_e32 v0, 12, v255
	v_lshlrev_b32_e32 v20, 3, v0
	global_load_dwordx4 v[12:15], v20, s[14:15] offset:16
	global_load_dwordx4 v[8:11], v20, s[14:15] offset:32
	;; [unrolled: 1-line block ×5, first 2 shown]
	s_nop 0
	global_load_dwordx4 v[20:23], v20, s[14:15] offset:96
	s_mov_b32 s4, 0x3f62ad3f
	s_mov_b32 s5, 0x3f116cb1
	;; [unrolled: 1-line block ×6, first 2 shown]
	s_waitcnt lgkmcnt(0)
	; wave barrier
	s_waitcnt vmcnt(5) lgkmcnt(0)
	v_mul_f32_e32 v80, v51, v13
	v_mul_f32_e32 v166, v27, v13
	;; [unrolled: 1-line block ×4, first 2 shown]
	s_waitcnt vmcnt(3)
	v_mul_f32_e32 v152, v34, v1
	v_fma_f32 v80, v50, v12, -v80
	v_fma_f32 v50, v26, v12, -v166
	s_waitcnt vmcnt(2)
	v_mul_f32_e32 v26, v41, v7
	v_mul_f32_e32 v151, v32, v11
	;; [unrolled: 1-line block ×4, first 2 shown]
	v_fmac_f32_e32 v152, v35, v0
	v_fma_f32 v35, v40, v6, -v26
	s_waitcnt vmcnt(1)
	v_mul_f32_e32 v26, v43, v17
	v_mul_f32_e32 v175, v33, v11
	;; [unrolled: 1-line block ×3, first 2 shown]
	v_fmac_f32_e32 v151, v33, v10
	v_fma_f32 v33, v36, v2, -v177
	v_fma_f32 v36, v42, v16, -v26
	v_mul_f32_e32 v26, v45, v19
	v_mul_f32_e32 v150, v30, v9
	;; [unrolled: 1-line block ×3, first 2 shown]
	v_fmac_f32_e32 v153, v37, v2
	v_fma_f32 v37, v44, v18, -v26
	s_waitcnt vmcnt(0)
	v_mul_f32_e32 v26, v47, v21
	v_mul_f32_e32 v82, v69, v15
	;; [unrolled: 1-line block ×5, first 2 shown]
	v_fmac_f32_e32 v81, v51, v12
	v_fmac_f32_e32 v150, v31, v8
	v_fma_f32 v31, v32, v10, -v175
	v_fma_f32 v32, v34, v0, -v176
	;; [unrolled: 1-line block ×4, first 2 shown]
	v_mul_f32_e32 v26, v77, v23
	v_mul_f32_e32 v84, v71, v9
	;; [unrolled: 1-line block ×3, first 2 shown]
	v_fma_f32 v68, v68, v14, -v82
	v_fmac_f32_e32 v83, v69, v14
	v_fmac_f32_e32 v146, v27, v12
	;; [unrolled: 1-line block ×3, first 2 shown]
	v_mul_f32_e32 v39, v40, v7
	v_fma_f32 v40, v76, v22, -v26
	v_add_f32_e32 v26, v48, v80
	v_add_f32_e32 v27, v49, v81
	v_mul_f32_e32 v86, v65, v11
	v_mul_f32_e32 v87, v64, v11
	v_fma_f32 v69, v70, v8, -v84
	v_fmac_f32_e32 v85, v71, v8
	v_add_f32_e32 v26, v26, v68
	v_add_f32_e32 v27, v27, v83
	v_mul_f32_e32 v88, v67, v1
	v_mul_f32_e32 v89, v66, v1
	v_fma_f32 v64, v64, v10, -v86
	v_fmac_f32_e32 v87, v65, v10
	;; [unrolled: 6-line block ×6, first 2 shown]
	v_add_f32_e32 v26, v26, v61
	v_add_f32_e32 v27, v27, v156
	v_mul_f32_e32 v157, v53, v19
	v_mul_f32_e32 v158, v52, v19
	;; [unrolled: 1-line block ×4, first 2 shown]
	v_fma_f32 v57, v58, v16, -v94
	v_fmac_f32_e32 v95, v59, v16
	v_add_f32_e32 v26, v26, v56
	v_add_f32_e32 v27, v27, v93
	v_mul_f32_e32 v162, v54, v21
	v_fma_f32 v52, v52, v18, -v157
	v_fmac_f32_e32 v158, v53, v18
	v_fma_f32 v53, v54, v20, -v160
	v_fma_f32 v54, v74, v22, -v164
	v_fmac_f32_e32 v39, v41, v6
	v_mul_f32_e32 v41, v42, v17
	v_mul_f32_e32 v42, v44, v19
	v_add_f32_e32 v26, v26, v57
	v_add_f32_e32 v27, v27, v95
	v_mul_f32_e32 v165, v74, v23
	v_fmac_f32_e32 v162, v55, v20
	v_fmac_f32_e32 v42, v45, v18
	v_mul_f32_e32 v44, v76, v23
	v_add_f32_e32 v26, v26, v52
	v_add_f32_e32 v27, v27, v158
	v_sub_f32_e32 v45, v80, v54
	v_mul_f32_e32 v168, v29, v15
	v_mul_f32_e32 v148, v28, v15
	v_fmac_f32_e32 v165, v75, v22
	v_fmac_f32_e32 v44, v77, v22
	v_add_f32_e32 v26, v26, v53
	v_add_f32_e32 v27, v27, v162
	v_mul_f32_e32 v55, 0xbeedf032, v45
	v_mul_f32_e32 v63, 0xbf52af12, v45
	;; [unrolled: 1-line block ×6, first 2 shown]
	v_fma_f32 v51, v28, v14, -v168
	v_fmac_f32_e32 v148, v29, v14
	v_fmac_f32_e32 v41, v43, v16
	v_mul_f32_e32 v43, v46, v21
	v_add_f32_e32 v28, v26, v54
	v_add_f32_e32 v29, v27, v165
	;; [unrolled: 1-line block ×4, first 2 shown]
	v_sub_f32_e32 v46, v81, v165
	v_mov_b32_e32 v58, v55
	v_mov_b32_e32 v66, v63
	v_mov_b32_e32 v74, v71
	v_mov_b32_e32 v80, v77
	v_mov_b32_e32 v86, v84
	v_mov_b32_e32 v90, v45
	v_fmac_f32_e32 v43, v47, v20
	v_mul_f32_e32 v47, 0xbeedf032, v46
	v_fmac_f32_e32 v58, 0x3f62ad3f, v27
	v_fma_f32 v55, v27, s4, -v55
	v_mul_f32_e32 v59, 0xbf52af12, v46
	v_fmac_f32_e32 v66, 0x3f116cb1, v27
	v_fma_f32 v63, v27, s5, -v63
	v_mul_f32_e32 v67, 0xbf7e222b, v46
	v_fmac_f32_e32 v74, 0x3df6dbef, v27
	v_fma_f32 v71, v27, s6, -v71
	v_mul_f32_e32 v75, 0xbf6f5d39, v46
	v_fmac_f32_e32 v80, 0xbeb58ec6, v27
	v_fma_f32 v77, v27, s7, -v77
	v_mul_f32_e32 v81, 0xbf29c268, v46
	v_fmac_f32_e32 v86, 0xbf3f9e67, v27
	v_fma_f32 v84, v27, s16, -v84
	v_mul_f32_e32 v46, 0xbe750f2a, v46
	v_fmac_f32_e32 v90, 0xbf788fa5, v27
	v_fma_f32 v27, v27, s17, -v45
	v_fma_f32 v54, v26, s4, -v47
	v_add_f32_e32 v58, v49, v58
	v_fmac_f32_e32 v47, 0x3f62ad3f, v26
	v_add_f32_e32 v55, v49, v55
	v_fma_f32 v62, v26, s5, -v59
	v_add_f32_e32 v66, v49, v66
	v_fmac_f32_e32 v59, 0x3f116cb1, v26
	v_add_f32_e32 v63, v49, v63
	;; [unrolled: 4-line block ×6, first 2 shown]
	v_sub_f32_e32 v49, v83, v162
	v_add_f32_e32 v54, v48, v54
	v_add_f32_e32 v47, v48, v47
	;; [unrolled: 1-line block ×13, first 2 shown]
	v_sub_f32_e32 v48, v68, v53
	v_mul_f32_e32 v53, 0xbf52af12, v49
	v_fma_f32 v68, v45, s5, -v53
	v_add_f32_e32 v46, v83, v162
	v_add_f32_e32 v54, v68, v54
	v_mul_f32_e32 v68, 0xbf52af12, v48
	v_fmac_f32_e32 v53, 0x3f116cb1, v45
	v_add_f32_e32 v47, v53, v47
	v_fma_f32 v53, v46, s5, -v68
	v_add_f32_e32 v53, v53, v55
	v_mul_f32_e32 v55, 0xbf6f5d39, v49
	v_mov_b32_e32 v83, v68
	v_fma_f32 v68, v45, s7, -v55
	v_add_f32_e32 v62, v68, v62
	v_mul_f32_e32 v68, 0xbf6f5d39, v48
	v_fmac_f32_e32 v55, 0xbeb58ec6, v45
	v_add_f32_e32 v55, v55, v59
	v_fma_f32 v59, v46, s7, -v68
	v_fmac_f32_e32 v83, 0x3f116cb1, v46
	v_add_f32_e32 v59, v59, v63
	v_mul_f32_e32 v63, 0xbe750f2a, v49
	v_add_f32_e32 v58, v83, v58
	v_mov_b32_e32 v83, v68
	v_fma_f32 v68, v45, s17, -v63
	v_fmac_f32_e32 v83, 0xbeb58ec6, v46
	v_add_f32_e32 v68, v68, v70
	v_mul_f32_e32 v70, 0xbe750f2a, v48
	v_fmac_f32_e32 v63, 0xbf788fa5, v45
	v_add_f32_e32 v66, v83, v66
	v_mov_b32_e32 v83, v70
	v_add_f32_e32 v63, v63, v67
	v_fma_f32 v67, v46, s17, -v70
	v_mul_f32_e32 v70, 0x3f29c268, v49
	v_add_f32_e32 v67, v67, v71
	v_fma_f32 v71, v45, s16, -v70
	v_fmac_f32_e32 v83, 0xbf788fa5, v46
	v_add_f32_e32 v71, v71, v76
	v_mul_f32_e32 v76, 0x3f29c268, v48
	v_fmac_f32_e32 v70, 0xbf3f9e67, v45
	v_add_f32_e32 v74, v83, v74
	v_mov_b32_e32 v83, v76
	v_add_f32_e32 v70, v70, v75
	v_fma_f32 v75, v46, s16, -v76
	v_mul_f32_e32 v76, 0x3f7e222b, v49
	v_add_f32_e32 v75, v75, v77
	v_fma_f32 v77, v45, s6, -v76
	v_fmac_f32_e32 v83, 0xbf3f9e67, v46
	v_add_f32_e32 v77, v77, v82
	v_mul_f32_e32 v82, 0x3f7e222b, v48
	v_fmac_f32_e32 v76, 0x3df6dbef, v45
	v_mul_f32_e32 v49, 0x3eedf032, v49
	v_add_f32_e32 v80, v83, v80
	v_mov_b32_e32 v83, v82
	v_add_f32_e32 v76, v76, v81
	v_fma_f32 v81, v46, s6, -v82
	v_fma_f32 v82, v45, s4, -v49
	v_mul_f32_e32 v48, 0x3eedf032, v48
	v_fmac_f32_e32 v49, 0x3f62ad3f, v45
	v_add_f32_e32 v26, v49, v26
	v_fma_f32 v45, v46, s4, -v48
	v_sub_f32_e32 v49, v85, v158
	v_add_f32_e32 v81, v81, v84
	v_mov_b32_e32 v84, v48
	v_add_f32_e32 v27, v45, v27
	v_add_f32_e32 v45, v69, v52
	v_sub_f32_e32 v48, v69, v52
	v_mul_f32_e32 v52, 0xbf7e222b, v49
	v_fma_f32 v69, v45, s6, -v52
	v_fmac_f32_e32 v83, 0x3df6dbef, v46
	v_fmac_f32_e32 v84, 0x3f62ad3f, v46
	v_add_f32_e32 v46, v85, v158
	v_add_f32_e32 v54, v69, v54
	v_mul_f32_e32 v69, 0xbf7e222b, v48
	v_fmac_f32_e32 v52, 0x3df6dbef, v45
	v_add_f32_e32 v47, v52, v47
	v_fma_f32 v52, v46, s6, -v69
	v_add_f32_e32 v52, v52, v53
	v_mul_f32_e32 v53, 0xbe750f2a, v49
	v_mov_b32_e32 v85, v69
	v_fma_f32 v69, v45, s17, -v53
	v_add_f32_e32 v62, v69, v62
	v_mul_f32_e32 v69, 0xbe750f2a, v48
	v_fmac_f32_e32 v53, 0xbf788fa5, v45
	v_add_f32_e32 v53, v53, v55
	v_fma_f32 v55, v46, s17, -v69
	v_fmac_f32_e32 v85, 0x3df6dbef, v46
	v_add_f32_e32 v55, v55, v59
	v_mul_f32_e32 v59, 0x3f6f5d39, v49
	v_add_f32_e32 v58, v85, v58
	v_mov_b32_e32 v85, v69
	v_fma_f32 v69, v45, s7, -v59
	v_add_f32_e32 v68, v69, v68
	v_mul_f32_e32 v69, 0x3f6f5d39, v48
	v_fmac_f32_e32 v59, 0xbeb58ec6, v45
	v_add_f32_e32 v59, v59, v63
	v_fma_f32 v63, v46, s7, -v69
	v_fmac_f32_e32 v85, 0xbf788fa5, v46
	v_add_f32_e32 v63, v63, v67
	v_mul_f32_e32 v67, 0x3eedf032, v49
	v_add_f32_e32 v66, v85, v66
	v_mov_b32_e32 v85, v69
	v_fma_f32 v69, v45, s4, -v67
	v_fmac_f32_e32 v85, 0xbeb58ec6, v46
	v_add_f32_e32 v69, v69, v71
	v_mul_f32_e32 v71, 0x3eedf032, v48
	v_fmac_f32_e32 v67, 0x3f62ad3f, v45
	v_add_f32_e32 v74, v85, v74
	v_mov_b32_e32 v85, v71
	v_add_f32_e32 v67, v67, v70
	v_fma_f32 v70, v46, s4, -v71
	v_mul_f32_e32 v71, 0xbf52af12, v49
	v_add_f32_e32 v70, v70, v75
	v_fma_f32 v75, v45, s5, -v71
	v_fmac_f32_e32 v85, 0x3f62ad3f, v46
	v_add_f32_e32 v75, v75, v77
	v_mul_f32_e32 v77, 0xbf52af12, v48
	v_fmac_f32_e32 v71, 0x3f116cb1, v45
	v_mul_f32_e32 v49, 0xbf29c268, v49
	v_add_f32_e32 v80, v85, v80
	v_mov_b32_e32 v85, v77
	v_add_f32_e32 v71, v71, v76
	v_fma_f32 v76, v46, s5, -v77
	v_fma_f32 v77, v45, s16, -v49
	v_mul_f32_e32 v48, 0xbf29c268, v48
	v_fmac_f32_e32 v49, 0xbf3f9e67, v45
	v_add_f32_e32 v26, v49, v26
	v_fma_f32 v45, v46, s16, -v48
	v_sub_f32_e32 v49, v87, v95
	v_add_f32_e32 v76, v76, v81
	v_mov_b32_e32 v81, v48
	v_add_f32_e32 v27, v45, v27
	v_add_f32_e32 v45, v64, v57
	v_sub_f32_e32 v48, v64, v57
	v_mul_f32_e32 v57, 0xbf6f5d39, v49
	v_fma_f32 v64, v45, s7, -v57
	v_fmac_f32_e32 v85, 0x3f116cb1, v46
	v_fmac_f32_e32 v81, 0xbf3f9e67, v46
	v_add_f32_e32 v46, v87, v95
	v_add_f32_e32 v54, v64, v54
	v_mul_f32_e32 v64, 0xbf6f5d39, v48
	v_fmac_f32_e32 v57, 0xbeb58ec6, v45
	v_add_f32_e32 v47, v57, v47
	v_fma_f32 v57, v46, s7, -v64
	v_add_f32_e32 v82, v82, v88
	v_add_f32_e32 v52, v57, v52
	v_mul_f32_e32 v57, 0x3f29c268, v49
	v_add_f32_e32 v77, v77, v82
	v_mov_b32_e32 v82, v64
	v_fma_f32 v64, v45, s16, -v57
	v_add_f32_e32 v62, v64, v62
	v_mul_f32_e32 v64, 0x3f29c268, v48
	v_fmac_f32_e32 v57, 0xbf3f9e67, v45
	v_add_f32_e32 v53, v57, v53
	v_fma_f32 v57, v46, s16, -v64
	v_fmac_f32_e32 v82, 0xbeb58ec6, v46
	v_add_f32_e32 v55, v57, v55
	v_mul_f32_e32 v57, 0x3eedf032, v49
	v_add_f32_e32 v58, v82, v58
	v_mov_b32_e32 v82, v64
	v_fma_f32 v64, v45, s4, -v57
	v_add_f32_e32 v64, v64, v68
	v_mul_f32_e32 v68, 0x3eedf032, v48
	v_fmac_f32_e32 v57, 0x3f62ad3f, v45
	v_add_f32_e32 v57, v57, v59
	v_fma_f32 v59, v46, s4, -v68
	v_fmac_f32_e32 v82, 0xbf3f9e67, v46
	v_add_f32_e32 v59, v59, v63
	v_mul_f32_e32 v63, 0xbf7e222b, v49
	v_add_f32_e32 v66, v82, v66
	v_mov_b32_e32 v82, v68
	v_fma_f32 v68, v45, s6, -v63
	v_fmac_f32_e32 v82, 0x3f62ad3f, v46
	v_add_f32_e32 v68, v68, v69
	v_mul_f32_e32 v69, 0xbf7e222b, v48
	v_fmac_f32_e32 v63, 0x3df6dbef, v45
	v_add_f32_e32 v74, v82, v74
	v_mov_b32_e32 v82, v69
	v_add_f32_e32 v63, v63, v67
	v_fma_f32 v67, v46, s6, -v69
	v_mul_f32_e32 v69, 0x3e750f2a, v49
	v_add_f32_e32 v67, v67, v70
	v_fma_f32 v70, v45, s17, -v69
	v_fmac_f32_e32 v82, 0x3df6dbef, v46
	v_add_f32_e32 v70, v70, v75
	v_mul_f32_e32 v75, 0x3e750f2a, v48
	v_fmac_f32_e32 v69, 0xbf788fa5, v45
	v_mul_f32_e32 v49, 0x3f52af12, v49
	v_add_f32_e32 v80, v82, v80
	v_mov_b32_e32 v82, v75
	v_add_f32_e32 v69, v69, v71
	v_fma_f32 v71, v46, s17, -v75
	v_fma_f32 v75, v45, s5, -v49
	v_mul_f32_e32 v48, 0x3f52af12, v48
	v_fmac_f32_e32 v49, 0x3f116cb1, v45
	v_add_f32_e32 v26, v49, v26
	v_fma_f32 v45, v46, s5, -v48
	v_sub_f32_e32 v49, v89, v93
	v_add_f32_e32 v71, v71, v76
	v_mov_b32_e32 v76, v48
	v_add_f32_e32 v27, v45, v27
	v_add_f32_e32 v45, v65, v56
	v_sub_f32_e32 v48, v65, v56
	v_mul_f32_e32 v56, 0xbf29c268, v49
	v_fma_f32 v65, v45, s16, -v56
	v_fmac_f32_e32 v82, 0xbf788fa5, v46
	v_fmac_f32_e32 v76, 0x3f116cb1, v46
	v_add_f32_e32 v46, v89, v93
	v_add_f32_e32 v54, v65, v54
	v_mul_f32_e32 v65, 0xbf29c268, v48
	v_fmac_f32_e32 v56, 0xbf3f9e67, v45
	v_add_f32_e32 v47, v56, v47
	v_fma_f32 v56, v46, s16, -v65
	v_add_f32_e32 v52, v56, v52
	v_mul_f32_e32 v56, 0x3f7e222b, v49
	v_add_f32_e32 v75, v75, v77
	v_mov_b32_e32 v77, v65
	v_fma_f32 v65, v45, s6, -v56
	v_add_f32_e32 v62, v65, v62
	v_mul_f32_e32 v65, 0x3f7e222b, v48
	v_fmac_f32_e32 v56, 0x3df6dbef, v45
	v_add_f32_e32 v53, v56, v53
	v_fma_f32 v56, v46, s6, -v65
	v_fmac_f32_e32 v77, 0xbf3f9e67, v46
	v_add_f32_e32 v55, v56, v55
	v_mul_f32_e32 v56, 0xbf52af12, v49
	v_add_f32_e32 v58, v77, v58
	v_mov_b32_e32 v77, v65
	v_fma_f32 v65, v45, s5, -v56
	v_add_f32_e32 v64, v65, v64
	v_mul_f32_e32 v65, 0xbf52af12, v48
	v_fmac_f32_e32 v56, 0x3f116cb1, v45
	v_add_f32_e32 v56, v56, v57
	v_fma_f32 v57, v46, s5, -v65
	v_fmac_f32_e32 v77, 0x3df6dbef, v46
	;; [unrolled: 11-line block ×3, first 2 shown]
	v_add_f32_e32 v63, v63, v67
	v_mul_f32_e32 v67, 0x3eedf032, v49
	v_add_f32_e32 v74, v77, v74
	v_mov_b32_e32 v77, v68
	v_fma_f32 v68, v45, s4, -v67
	v_fmac_f32_e32 v77, 0xbf788fa5, v46
	v_add_f32_e32 v68, v68, v70
	v_mul_f32_e32 v70, 0x3eedf032, v48
	v_fmac_f32_e32 v67, 0x3f62ad3f, v45
	v_mul_f32_e32 v49, 0xbf6f5d39, v49
	v_add_f32_e32 v77, v77, v80
	v_mov_b32_e32 v80, v70
	v_add_f32_e32 v67, v67, v69
	v_fma_f32 v69, v46, s4, -v70
	v_fma_f32 v70, v45, s7, -v49
	v_mul_f32_e32 v48, 0xbf6f5d39, v48
	v_fmac_f32_e32 v49, 0xbeb58ec6, v45
	v_add_f32_e32 v83, v83, v86
	v_add_f32_e32 v26, v49, v26
	v_fma_f32 v45, v46, s7, -v48
	v_sub_f32_e32 v49, v155, v156
	v_add_f32_e32 v83, v85, v83
	v_add_f32_e32 v69, v69, v71
	v_mov_b32_e32 v71, v48
	v_add_f32_e32 v27, v45, v27
	v_add_f32_e32 v45, v60, v61
	v_sub_f32_e32 v48, v60, v61
	v_mul_f32_e32 v60, 0xbe750f2a, v49
	v_add_f32_e32 v82, v82, v83
	v_fmac_f32_e32 v80, 0x3f62ad3f, v46
	v_fma_f32 v61, v45, s17, -v60
	v_add_f32_e32 v157, v80, v82
	v_fmac_f32_e32 v71, 0xbeb58ec6, v46
	v_add_f32_e32 v46, v155, v156
	v_add_f32_e32 v80, v61, v54
	v_mul_f32_e32 v54, 0xbe750f2a, v48
	v_fmac_f32_e32 v60, 0xbf788fa5, v45
	v_add_f32_e32 v82, v60, v47
	v_fma_f32 v47, v46, s17, -v54
	v_add_f32_e32 v83, v47, v52
	v_mul_f32_e32 v47, 0x3eedf032, v49
	v_add_f32_e32 v84, v84, v90
	v_fma_f32 v52, v45, s4, -v47
	v_add_f32_e32 v81, v81, v84
	v_add_f32_e32 v84, v52, v62
	v_mul_f32_e32 v52, 0x3eedf032, v48
	v_fmac_f32_e32 v47, 0x3f62ad3f, v45
	v_add_f32_e32 v86, v47, v53
	v_fma_f32 v47, v46, s4, -v52
	v_add_f32_e32 v87, v47, v55
	v_mul_f32_e32 v47, 0xbf29c268, v49
	v_mov_b32_e32 v61, v54
	v_mov_b32_e32 v54, v52
	v_fma_f32 v52, v45, s16, -v47
	v_add_f32_e32 v88, v52, v64
	v_mul_f32_e32 v52, 0xbf29c268, v48
	v_fmac_f32_e32 v47, 0xbf3f9e67, v45
	v_add_f32_e32 v90, v47, v56
	v_fma_f32 v47, v46, s16, -v52
	v_add_f32_e32 v91, v47, v57
	v_mul_f32_e32 v47, 0x3f52af12, v49
	v_mov_b32_e32 v53, v52
	v_fma_f32 v52, v45, s5, -v47
	v_add_f32_e32 v92, v52, v65
	v_mul_f32_e32 v52, 0x3f52af12, v48
	v_fmac_f32_e32 v47, 0x3f116cb1, v45
	v_add_f32_e32 v94, v47, v59
	v_fma_f32 v47, v46, s5, -v52
	v_fmac_f32_e32 v53, 0xbf3f9e67, v46
	v_add_f32_e32 v95, v47, v63
	v_mul_f32_e32 v47, 0xbf6f5d39, v49
	v_add_f32_e32 v89, v53, v74
	v_mov_b32_e32 v53, v52
	v_fma_f32 v52, v45, s7, -v47
	v_add_f32_e32 v185, v52, v68
	v_mul_f32_e32 v52, 0xbf6f5d39, v48
	v_fmac_f32_e32 v47, 0xbeb58ec6, v45
	v_add_f32_e32 v187, v47, v67
	v_fma_f32 v47, v46, s7, -v52
	v_add_f32_e32 v188, v47, v69
	v_mul_f32_e32 v47, 0x3f7e222b, v49
	v_sub_f32_e32 v69, v146, v44
	v_add_f32_e32 v70, v70, v75
	v_fmac_f32_e32 v53, 0x3f116cb1, v46
	v_fma_f32 v49, v45, s6, -v47
	v_mul_f32_e32 v48, 0x3f7e222b, v48
	v_fmac_f32_e32 v47, 0x3df6dbef, v45
	v_mul_f32_e32 v63, 0xbf52af12, v69
	v_add_f32_e32 v76, v76, v81
	v_fmac_f32_e32 v61, 0xbf788fa5, v46
	v_add_f32_e32 v93, v53, v77
	v_mov_b32_e32 v53, v52
	v_add_f32_e32 v189, v49, v70
	v_mov_b32_e32 v49, v48
	v_add_f32_e32 v191, v47, v26
	v_add_f32_e32 v45, v50, v40
	v_sub_f32_e32 v77, v50, v40
	v_mov_b32_e32 v47, v63
	v_add_f32_e32 v71, v71, v76
	v_add_f32_e32 v81, v61, v58
	v_fmac_f32_e32 v54, 0x3f62ad3f, v46
	v_fmac_f32_e32 v53, 0xbeb58ec6, v46
	;; [unrolled: 1-line block ×3, first 2 shown]
	v_fma_f32 v26, v46, s6, -v48
	v_add_f32_e32 v46, v146, v44
	v_mul_f32_e32 v58, 0xbeedf032, v69
	v_mul_f32_e32 v65, 0xbf52af12, v77
	v_fmac_f32_e32 v47, 0x3f116cb1, v45
	v_sub_f32_e32 v76, v148, v43
	v_add_f32_e32 v190, v49, v71
	v_add_f32_e32 v192, v26, v27
	v_mov_b32_e32 v26, v58
	v_add_f32_e32 v49, v24, v47
	v_fma_f32 v47, v46, s5, -v65
	v_mul_f32_e32 v61, 0xbf52af12, v76
	v_add_f32_e32 v186, v53, v157
	v_mul_f32_e32 v60, 0xbeedf032, v77
	v_fmac_f32_e32 v26, 0x3f62ad3f, v45
	v_add_f32_e32 v52, v25, v47
	v_add_f32_e32 v47, v51, v38
	v_sub_f32_e32 v162, v51, v38
	v_mov_b32_e32 v53, v61
	v_add_f32_e32 v26, v24, v26
	v_fma_f32 v27, v46, s4, -v60
	v_add_f32_e32 v48, v148, v43
	v_mul_f32_e32 v62, 0xbf52af12, v162
	v_fmac_f32_e32 v53, 0x3f116cb1, v47
	v_add_f32_e32 v27, v25, v27
	v_add_f32_e32 v26, v53, v26
	v_fma_f32 v53, v48, s5, -v62
	v_mul_f32_e32 v67, 0xbf6f5d39, v76
	v_add_f32_e32 v27, v53, v27
	v_mov_b32_e32 v53, v67
	v_mul_f32_e32 v70, 0xbf6f5d39, v162
	v_fmac_f32_e32 v53, 0xbeb58ec6, v47
	v_sub_f32_e32 v160, v150, v42
	v_fma_f32 v30, v30, v8, -v174
	v_add_f32_e32 v85, v54, v66
	v_add_f32_e32 v54, v53, v49
	v_fma_f32 v49, v48, s7, -v70
	v_mul_f32_e32 v64, 0xbf7e222b, v160
	v_add_f32_e32 v52, v49, v52
	v_add_f32_e32 v49, v30, v37
	v_sub_f32_e32 v176, v30, v37
	v_mov_b32_e32 v55, v64
	v_add_f32_e32 v53, v150, v42
	v_mul_f32_e32 v66, 0xbf7e222b, v176
	v_fmac_f32_e32 v55, 0x3df6dbef, v49
	v_add_f32_e32 v26, v55, v26
	v_fma_f32 v55, v53, s6, -v66
	v_mul_f32_e32 v74, 0xbe750f2a, v160
	v_add_f32_e32 v27, v55, v27
	v_mov_b32_e32 v55, v74
	v_mul_f32_e32 v155, 0xbe750f2a, v176
	v_fmac_f32_e32 v55, 0xbf788fa5, v49
	v_sub_f32_e32 v175, v151, v41
	v_add_f32_e32 v54, v55, v54
	v_fma_f32 v55, v53, s17, -v155
	v_mul_f32_e32 v68, 0xbf6f5d39, v175
	v_add_f32_e32 v56, v55, v52
	v_add_f32_e32 v52, v31, v36
	v_sub_f32_e32 v180, v31, v36
	v_mov_b32_e32 v57, v68
	v_add_f32_e32 v55, v151, v41
	v_mul_f32_e32 v71, 0xbf6f5d39, v180
	v_fmac_f32_e32 v57, 0xbeb58ec6, v52
	v_add_f32_e32 v26, v57, v26
	v_fma_f32 v57, v55, s7, -v71
	v_mul_f32_e32 v157, 0x3f29c268, v175
	v_add_f32_e32 v27, v57, v27
	v_mov_b32_e32 v57, v157
	v_mul_f32_e32 v164, 0x3f29c268, v180
	v_fmac_f32_e32 v57, 0xbf3f9e67, v52
	v_sub_f32_e32 v179, v152, v39
	;; [unrolled: 18-line block ×3, first 2 shown]
	v_add_f32_e32 v193, v158, v59
	v_fma_f32 v59, v57, s6, -v177
	v_mul_f32_e32 v158, 0xbe750f2a, v182
	v_add_f32_e32 v194, v59, v56
	v_add_f32_e32 v56, v33, v34
	v_sub_f32_e32 v184, v33, v34
	v_mov_b32_e32 v165, v158
	v_add_f32_e32 v59, v153, v154
	v_mul_f32_e32 v168, 0xbe750f2a, v184
	v_fmac_f32_e32 v165, 0xbf788fa5, v56
	v_add_f32_e32 v165, v165, v26
	v_fma_f32 v26, v59, s17, -v168
	v_mul_f32_e32 v178, 0x3eedf032, v182
	v_add_f32_e32 v166, v26, v27
	v_mov_b32_e32 v26, v178
	v_fmac_f32_e32 v26, 0x3f62ad3f, v56
	v_add_f32_e32 v26, v26, v193
	v_lshrrev_b32_e32 v193, 2, v208
	v_mul_u32_u24_e32 v193, 52, v193
	v_mul_f32_e32 v181, 0x3eedf032, v184
	v_or_b32_e32 v193, v193, v255
	v_fma_f32 v27, v59, s4, -v181
	v_lshlrev_b32_e32 v226, 3, v193
	v_add_f32_e32 v27, v27, v194
	ds_write2_b64 v226, v[28:29], v[80:81] offset1:4
	ds_write2_b64 v226, v[84:85], v[88:89] offset0:8 offset1:12
	ds_write2_b64 v226, v[92:93], v[185:186] offset0:16 offset1:20
	;; [unrolled: 1-line block ×5, first 2 shown]
	ds_write_b64 v226, v[82:83] offset:384
	v_lshrrev_b32_e32 v28, 2, v145
	buffer_store_dword v28, off, s[20:23], 0 ; 4-byte Folded Spill
	s_and_saveexec_b64 s[0:1], vcc
	s_cbranch_execz .LBB0_5
; %bb.4:
	v_mul_f32_e32 v86, 0xbeb58ec6, v46
	v_mov_b32_e32 v28, v86
	v_mul_f32_e32 v87, 0xbf3f9e67, v48
	v_fmac_f32_e32 v28, 0x3f6f5d39, v77
	v_mov_b32_e32 v29, v87
	v_add_f32_e32 v28, v25, v28
	v_fmac_f32_e32 v29, 0xbf29c268, v162
	v_mul_f32_e32 v200, 0x3f62ad3f, v53
	v_add_f32_e32 v28, v29, v28
	v_mov_b32_e32 v29, v200
	v_fmac_f32_e32 v29, 0xbeedf032, v176
	v_mul_f32_e32 v201, 0x3df6dbef, v55
	v_add_f32_e32 v28, v29, v28
	v_mov_b32_e32 v29, v201
	;; [unrolled: 4-line block ×5, first 2 shown]
	v_mul_f32_e32 v209, 0x3f29c268, v76
	v_fmac_f32_e32 v28, 0xbeb58ec6, v45
	v_mov_b32_e32 v80, v209
	v_add_f32_e32 v28, v24, v28
	v_fmac_f32_e32 v80, 0xbf3f9e67, v47
	v_mul_f32_e32 v210, 0x3eedf032, v160
	v_add_f32_e32 v28, v80, v28
	v_mov_b32_e32 v80, v210
	v_fmac_f32_e32 v80, 0x3f62ad3f, v49
	v_mul_f32_e32 v211, 0xbf7e222b, v175
	v_add_f32_e32 v28, v80, v28
	v_mov_b32_e32 v80, v211
	v_mul_f32_e32 v89, 0x3f62ad3f, v46
	v_fmac_f32_e32 v80, 0x3df6dbef, v52
	v_mul_f32_e32 v212, 0x3e750f2a, v179
	v_mul_f32_e32 v93, 0x3f116cb1, v48
	v_add_f32_e32 v28, v80, v28
	v_mov_b32_e32 v80, v212
	v_add_f32_e32 v60, v60, v89
	v_mul_f32_e32 v185, 0x3df6dbef, v53
	v_fmac_f32_e32 v80, 0xbf788fa5, v54
	v_mul_f32_e32 v213, 0x3f52af12, v182
	v_add_f32_e32 v60, v25, v60
	v_add_f32_e32 v62, v62, v93
	v_mul_f32_e32 v189, 0xbeb58ec6, v55
	v_add_f32_e32 v28, v80, v28
	v_mov_b32_e32 v80, v213
	v_add_f32_e32 v60, v62, v60
	v_add_f32_e32 v62, v66, v185
	v_mul_f32_e32 v193, 0xbf3f9e67, v57
	v_fmac_f32_e32 v80, 0x3f116cb1, v56
	v_mul_f32_e32 v82, 0xbf788fa5, v46
	v_add_f32_e32 v60, v62, v60
	v_add_f32_e32 v62, v71, v189
	v_mul_f32_e32 v88, 0x3f62ad3f, v45
	v_mul_f32_e32 v197, 0xbf788fa5, v59
	v_add_f32_e32 v28, v80, v28
	v_mov_b32_e32 v80, v82
	v_mul_f32_e32 v83, 0x3f62ad3f, v48
	v_add_f32_e32 v60, v62, v60
	v_add_f32_e32 v62, v156, v193
	v_mul_f32_e32 v92, 0x3f116cb1, v47
	v_fmac_f32_e32 v80, 0x3e750f2a, v77
	v_mov_b32_e32 v81, v83
	v_add_f32_e32 v60, v62, v60
	v_add_f32_e32 v62, v168, v197
	v_sub_f32_e32 v58, v88, v58
	v_mul_f32_e32 v145, 0x3df6dbef, v49
	v_add_f32_e32 v80, v25, v80
	v_fmac_f32_e32 v81, 0xbeedf032, v162
	v_mul_f32_e32 v84, 0xbf3f9e67, v53
	v_add_f32_e32 v62, v62, v60
	v_add_f32_e32 v58, v24, v58
	v_sub_f32_e32 v60, v92, v61
	v_mul_f32_e32 v188, 0xbeb58ec6, v52
	v_add_f32_e32 v80, v81, v80
	v_mov_b32_e32 v81, v84
	v_add_f32_e32 v58, v60, v58
	v_sub_f32_e32 v60, v145, v64
	v_mul_f32_e32 v192, 0xbf3f9e67, v54
	v_fmac_f32_e32 v81, 0x3f29c268, v176
	v_mul_f32_e32 v85, 0x3f116cb1, v55
	v_add_f32_e32 v58, v60, v58
	v_sub_f32_e32 v60, v188, v68
	v_mul_f32_e32 v196, 0xbf788fa5, v56
	v_add_f32_e32 v80, v81, v80
	v_mov_b32_e32 v81, v85
	v_add_f32_e32 v58, v60, v58
	v_sub_f32_e32 v60, v192, v75
	v_fmac_f32_e32 v81, 0xbf52af12, v180
	v_mul_f32_e32 v214, 0xbeb58ec6, v57
	v_add_f32_e32 v58, v60, v58
	v_sub_f32_e32 v60, v196, v158
	v_add_f32_e32 v80, v81, v80
	v_mov_b32_e32 v81, v214
	v_add_f32_e32 v61, v60, v58
	v_add_f32_e32 v58, v25, v146
	v_fmac_f32_e32 v81, 0x3f6f5d39, v183
	v_mul_f32_e32 v215, 0x3df6dbef, v59
	v_add_f32_e32 v58, v58, v148
	v_add_f32_e32 v80, v81, v80
	v_mov_b32_e32 v81, v215
	v_add_f32_e32 v58, v58, v150
	v_fmac_f32_e32 v81, 0xbf7e222b, v184
	v_mul_f32_e32 v216, 0xbe750f2a, v69
	v_add_f32_e32 v58, v58, v151
	v_add_f32_e32 v81, v81, v80
	v_mov_b32_e32 v80, v216
	v_mul_f32_e32 v217, 0x3eedf032, v76
	v_add_f32_e32 v58, v58, v152
	v_fmac_f32_e32 v80, 0xbf788fa5, v45
	v_mov_b32_e32 v218, v217
	v_fmac_f32_e32 v86, 0xbf6f5d39, v77
	v_add_f32_e32 v58, v58, v153
	v_add_f32_e32 v80, v24, v80
	v_fmac_f32_e32 v218, 0x3f62ad3f, v47
	v_fmac_f32_e32 v82, 0xbe750f2a, v77
	v_add_f32_e32 v86, v25, v86
	v_fmac_f32_e32 v87, 0x3f29c268, v162
	v_add_f32_e32 v58, v58, v154
	v_add_f32_e32 v80, v218, v80
	v_mul_f32_e32 v218, 0xbf29c268, v160
	v_add_f32_e32 v82, v25, v82
	v_fmac_f32_e32 v83, 0x3eedf032, v162
	v_add_f32_e32 v86, v87, v86
	v_fmac_f32_e32 v200, 0x3eedf032, v176
	v_add_f32_e32 v39, v58, v39
	v_mov_b32_e32 v219, v218
	v_add_f32_e32 v82, v83, v82
	v_fmac_f32_e32 v84, 0xbf29c268, v176
	v_add_f32_e32 v86, v200, v86
	v_fmac_f32_e32 v201, 0xbf7e222b, v180
	v_add_f32_e32 v39, v39, v41
	v_add_f32_e32 v41, v24, v50
	v_fmac_f32_e32 v219, 0xbf3f9e67, v49
	v_add_f32_e32 v82, v84, v82
	v_fmac_f32_e32 v85, 0x3f52af12, v180
	;; [unrolled: 2-line block ×3, first 2 shown]
	v_add_f32_e32 v41, v41, v51
	v_add_f32_e32 v80, v219, v80
	v_mul_f32_e32 v219, 0x3f52af12, v175
	v_add_f32_e32 v82, v85, v82
	v_fmac_f32_e32 v214, 0xbf6f5d39, v183
	v_add_f32_e32 v86, v202, v86
	v_fmac_f32_e32 v203, 0x3f52af12, v184
	v_add_f32_e32 v30, v41, v30
	v_mov_b32_e32 v220, v219
	v_add_f32_e32 v82, v214, v82
	v_fmac_f32_e32 v215, 0x3f7e222b, v184
	v_add_f32_e32 v87, v203, v86
	v_fma_f32 v86, v45, s7, -v204
	v_add_f32_e32 v30, v30, v31
	v_fmac_f32_e32 v220, 0x3f116cb1, v52
	v_add_f32_e32 v83, v215, v82
	v_fma_f32 v82, v45, s17, -v216
	v_add_f32_e32 v86, v24, v86
	v_fma_f32 v200, v47, s16, -v209
	v_add_f32_e32 v30, v30, v32
	v_add_f32_e32 v80, v220, v80
	v_mul_f32_e32 v220, 0xbf6f5d39, v179
	v_add_f32_e32 v82, v24, v82
	v_fma_f32 v84, v47, s4, -v217
	v_add_f32_e32 v86, v200, v86
	v_fma_f32 v200, v49, s4, -v210
	v_add_f32_e32 v30, v30, v33
	v_mov_b32_e32 v221, v220
	v_add_f32_e32 v82, v84, v82
	v_fma_f32 v84, v49, s16, -v218
	v_add_f32_e32 v86, v200, v86
	v_fma_f32 v200, v52, s6, -v211
	v_add_f32_e32 v30, v30, v34
	v_fmac_f32_e32 v221, 0xbeb58ec6, v54
	v_add_f32_e32 v82, v84, v82
	v_fma_f32 v84, v52, s5, -v219
	v_add_f32_e32 v86, v200, v86
	v_fma_f32 v200, v54, s17, -v212
	v_add_f32_e32 v30, v30, v35
	v_add_f32_e32 v80, v221, v80
	v_mul_f32_e32 v221, 0x3f7e222b, v182
	v_add_f32_e32 v82, v84, v82
	v_fma_f32 v84, v54, s7, -v220
	v_add_f32_e32 v86, v200, v86
	v_fma_f32 v200, v56, s5, -v213
	v_add_f32_e32 v30, v30, v36
	v_add_f32_e32 v82, v84, v82
	v_fma_f32 v84, v56, s6, -v221
	v_mul_f32_e32 v214, 0xbf29c268, v77
	v_add_f32_e32 v86, v200, v86
	v_mul_f32_e32 v200, 0xbf7e222b, v77
	v_add_f32_e32 v30, v30, v37
	;; [unrolled: 2-line block ×3, first 2 shown]
	v_mov_b32_e32 v84, v214
	v_mov_b32_e32 v77, v200
	v_add_f32_e32 v30, v30, v38
	v_fmac_f32_e32 v84, 0xbf3f9e67, v46
	v_mul_f32_e32 v215, 0x3f7e222b, v162
	v_fmac_f32_e32 v77, 0x3df6dbef, v46
	v_mul_f32_e32 v162, 0xbe750f2a, v162
	v_add_f32_e32 v65, v65, v91
	v_add_f32_e32 v38, v30, v40
	v_fma_f32 v30, v46, s16, -v214
	v_fma_f32 v32, v46, s6, -v200
	v_add_f32_e32 v84, v25, v84
	v_mul_f32_e32 v216, 0xbf52af12, v176
	v_add_f32_e32 v77, v25, v77
	v_mul_f32_e32 v176, 0x3f6f5d39, v176
	v_add_f32_e32 v65, v25, v65
	v_add_f32_e32 v30, v25, v30
	;; [unrolled: 1-line block ×3, first 2 shown]
	v_fma_f32 v32, v48, s17, -v162
	v_mul_f32_e32 v217, 0x3e750f2a, v180
	v_mul_f32_e32 v180, 0x3eedf032, v180
	v_add_f32_e32 v25, v32, v25
	v_fma_f32 v32, v53, s7, -v176
	v_mul_f32_e32 v218, 0x3eedf032, v183
	v_mul_f32_e32 v183, 0xbf52af12, v183
	v_add_f32_e32 v25, v32, v25
	v_fma_f32 v32, v55, s4, -v180
	v_mul_f32_e32 v219, 0xbf6f5d39, v184
	v_mul_f32_e32 v184, 0xbf29c268, v184
	v_add_f32_e32 v25, v32, v25
	v_fma_f32 v32, v57, s5, -v183
	v_add_f32_e32 v25, v32, v25
	v_fma_f32 v32, v59, s16, -v184
	v_add_f32_e32 v25, v32, v25
	buffer_load_dword v32, off, s[20:23], 0 ; 4-byte Folded Reload
	v_mov_b32_e32 v85, v215
	v_fmac_f32_e32 v85, 0x3df6dbef, v48
	v_add_f32_e32 v84, v85, v84
	v_mov_b32_e32 v85, v216
	v_fmac_f32_e32 v85, 0x3f116cb1, v53
	v_mov_b32_e32 v201, v162
	v_add_f32_e32 v84, v85, v84
	v_mov_b32_e32 v85, v217
	v_fmac_f32_e32 v201, 0xbf788fa5, v48
	v_fmac_f32_e32 v85, 0xbf788fa5, v55
	v_add_f32_e32 v77, v201, v77
	v_mov_b32_e32 v201, v176
	v_add_f32_e32 v84, v85, v84
	v_mov_b32_e32 v85, v218
	v_fmac_f32_e32 v201, 0xbeb58ec6, v53
	v_fmac_f32_e32 v85, 0x3f62ad3f, v57
	v_add_f32_e32 v77, v201, v77
	v_mov_b32_e32 v201, v180
	v_add_f32_e32 v84, v85, v84
	v_mov_b32_e32 v85, v219
	v_fmac_f32_e32 v201, 0x3f62ad3f, v55
	v_mov_b32_e32 v222, v221
	v_fmac_f32_e32 v85, 0xbeb58ec6, v59
	v_mul_f32_e32 v220, 0xbf29c268, v69
	v_add_f32_e32 v77, v201, v77
	v_mov_b32_e32 v201, v183
	v_fmac_f32_e32 v222, 0x3df6dbef, v56
	v_add_f32_e32 v85, v85, v84
	v_fma_f32 v84, v45, s16, -v220
	v_mul_f32_e32 v221, 0x3f7e222b, v76
	v_fmac_f32_e32 v201, 0x3f116cb1, v57
	v_add_f32_e32 v80, v222, v80
	v_add_f32_e32 v84, v24, v84
	v_fma_f32 v222, v47, s6, -v221
	v_add_f32_e32 v77, v201, v77
	v_mov_b32_e32 v201, v184
	v_add_f32_e32 v84, v222, v84
	v_mul_f32_e32 v222, 0xbf52af12, v160
	v_fmac_f32_e32 v201, 0xbf3f9e67, v59
	v_fma_f32 v223, v49, s5, -v222
	v_add_f32_e32 v77, v201, v77
	v_mul_f32_e32 v201, 0xbf7e222b, v69
	v_add_f32_e32 v84, v223, v84
	v_mul_f32_e32 v223, 0x3e750f2a, v175
	v_fma_f32 v69, v45, s6, -v201
	v_mul_f32_e32 v202, 0xbe750f2a, v76
	v_fma_f32 v224, v52, s17, -v223
	v_add_f32_e32 v69, v24, v69
	v_fma_f32 v76, v47, s17, -v202
	v_mul_f32_e32 v160, 0x3f6f5d39, v160
	v_add_f32_e32 v84, v224, v84
	v_mul_f32_e32 v224, 0x3eedf032, v179
	v_add_f32_e32 v69, v76, v69
	v_fma_f32 v76, v49, s7, -v160
	v_mul_f32_e32 v175, 0x3eedf032, v175
	v_fma_f32 v225, v54, s4, -v224
	v_add_f32_e32 v69, v76, v69
	v_fma_f32 v76, v52, s4, -v175
	v_mul_f32_e32 v179, 0xbf52af12, v179
	v_add_f32_e32 v84, v225, v84
	v_mul_f32_e32 v225, 0xbf6f5d39, v182
	v_add_f32_e32 v69, v76, v69
	v_fma_f32 v76, v54, s5, -v179
	v_mul_f32_e32 v182, 0xbf29c268, v182
	v_mul_f32_e32 v95, 0xbeb58ec6, v48
	v_add_f32_e32 v69, v76, v69
	v_fma_f32 v76, v56, s16, -v182
	v_mul_f32_e32 v187, 0xbf788fa5, v53
	v_add_f32_e32 v76, v76, v69
	v_add_f32_e32 v69, v70, v95
	v_fma_f32 v31, v48, s6, -v215
	v_mul_f32_e32 v191, 0xbf3f9e67, v55
	v_add_f32_e32 v65, v69, v65
	v_add_f32_e32 v69, v155, v187
	;; [unrolled: 1-line block ×3, first 2 shown]
	v_fma_f32 v31, v53, s5, -v216
	v_mul_f32_e32 v195, 0x3df6dbef, v57
	v_add_f32_e32 v65, v69, v65
	v_add_f32_e32 v69, v164, v191
	;; [unrolled: 1-line block ×3, first 2 shown]
	v_fma_f32 v31, v55, s17, -v217
	v_mul_f32_e32 v90, 0x3f116cb1, v45
	v_mul_f32_e32 v199, 0x3f62ad3f, v59
	v_add_f32_e32 v65, v69, v65
	v_add_f32_e32 v69, v177, v195
	;; [unrolled: 1-line block ×3, first 2 shown]
	v_fma_f32 v31, v57, s4, -v218
	v_mul_f32_e32 v94, 0xbeb58ec6, v47
	v_add_f32_e32 v65, v69, v65
	v_add_f32_e32 v69, v181, v199
	v_sub_f32_e32 v63, v90, v63
	v_add_f32_e32 v30, v31, v30
	v_fma_f32 v31, v59, s7, -v219
	v_fmac_f32_e32 v220, 0xbf3f9e67, v45
	v_fmac_f32_e32 v201, 0x3df6dbef, v45
	v_mul_f32_e32 v186, 0xbf788fa5, v49
	v_add_f32_e32 v70, v69, v65
	v_add_f32_e32 v63, v24, v63
	v_sub_f32_e32 v65, v94, v67
	v_add_f32_e32 v31, v31, v30
	v_add_f32_e32 v30, v24, v220
	v_fmac_f32_e32 v221, 0x3df6dbef, v47
	v_add_f32_e32 v24, v24, v201
	v_fmac_f32_e32 v202, 0xbf788fa5, v47
	v_mul_f32_e32 v190, 0xbf3f9e67, v52
	v_add_f32_e32 v63, v65, v63
	v_sub_f32_e32 v65, v186, v74
	v_add_f32_e32 v30, v221, v30
	v_fmac_f32_e32 v222, 0x3f116cb1, v49
	v_add_f32_e32 v24, v202, v24
	v_fmac_f32_e32 v160, 0xbeb58ec6, v49
	v_mul_f32_e32 v194, 0x3df6dbef, v54
	v_add_f32_e32 v63, v65, v63
	v_sub_f32_e32 v65, v190, v157
	v_add_f32_e32 v39, v39, v42
	v_add_f32_e32 v30, v222, v30
	v_fmac_f32_e32 v223, 0xbf788fa5, v52
	v_add_f32_e32 v24, v160, v24
	v_fmac_f32_e32 v175, 0x3f62ad3f, v52
	s_waitcnt vmcnt(0)
	v_mul_u32_u24_e32 v32, 52, v32
	v_mul_f32_e32 v198, 0x3f62ad3f, v56
	v_add_f32_e32 v63, v65, v63
	v_sub_f32_e32 v65, v194, v174
	v_add_f32_e32 v39, v39, v43
	v_add_f32_e32 v30, v223, v30
	v_fmac_f32_e32 v224, 0x3f62ad3f, v54
	v_add_f32_e32 v24, v175, v24
	v_fmac_f32_e32 v179, 0x3f116cb1, v54
	v_or_b32_e32 v32, v32, v255
	v_fma_f32 v228, v56, s7, -v225
	v_add_f32_e32 v63, v65, v63
	v_sub_f32_e32 v65, v198, v178
	v_add_f32_e32 v39, v39, v44
	v_add_f32_e32 v30, v224, v30
	v_fmac_f32_e32 v225, 0xbeb58ec6, v56
	v_add_f32_e32 v24, v179, v24
	v_fmac_f32_e32 v182, 0xbf3f9e67, v56
	v_lshlrev_b32_e32 v32, 3, v32
	v_add_f32_e32 v84, v228, v84
	v_add_f32_e32 v69, v65, v63
	;; [unrolled: 1-line block ×4, first 2 shown]
	ds_write2_b64 v32, v[38:39], v[61:62] offset1:4
	ds_write2_b64 v32, v[69:70], v[76:77] offset0:8 offset1:12
	ds_write2_b64 v32, v[86:87], v[84:85] offset0:16 offset1:20
	;; [unrolled: 1-line block ×5, first 2 shown]
	ds_write_b64 v32, v[165:166] offset:384
.LBB0_5:
	s_or_b64 exec, exec, s[0:1]
	s_movk_i32 s0, 0x4f
	v_mul_lo_u16_sdwa v24, v147, s0 dst_sel:DWORD dst_unused:UNUSED_PAD src0_sel:BYTE_0 src1_sel:DWORD
	v_lshrrev_b16_e32 v24, 12, v24
	v_mul_lo_u16_e32 v24, 52, v24
	v_sub_u16_e32 v24, v147, v24
	v_mov_b32_e32 v25, 3
	v_lshlrev_b32_sdwa v253, v25, v24 dst_sel:DWORD dst_unused:UNUSED_PAD src0_sel:DWORD src1_sel:BYTE_0
	v_mul_lo_u16_sdwa v24, v149, s0 dst_sel:DWORD dst_unused:UNUSED_PAD src0_sel:BYTE_0 src1_sel:DWORD
	v_lshrrev_b16_e32 v24, 12, v24
	v_mul_lo_u16_e32 v24, 52, v24
	s_movk_i32 s0, 0x4ec5
	v_sub_u16_e32 v24, v149, v24
	v_mul_u32_u24_sdwa v43, v172, s0 dst_sel:DWORD dst_unused:UNUSED_PAD src0_sel:WORD_0 src1_sel:DWORD
	v_lshlrev_b32_sdwa v217, v25, v24 dst_sel:DWORD dst_unused:UNUSED_PAD src0_sel:DWORD src1_sel:BYTE_0
	v_lshrrev_b32_e32 v24, 20, v43
	v_mul_lo_u16_e32 v24, 52, v24
	v_sub_u16_e32 v24, v172, v24
	v_mul_u32_u24_sdwa v40, v171, s0 dst_sel:DWORD dst_unused:UNUSED_PAD src0_sel:WORD_0 src1_sel:DWORD
	v_lshlrev_b32_e32 v218, 3, v24
	v_lshrrev_b32_e32 v24, 20, v40
	v_mul_lo_u16_e32 v24, 52, v24
	v_sub_u16_e32 v24, v171, v24
	v_mul_u32_u24_sdwa v44, v170, s0 dst_sel:DWORD dst_unused:UNUSED_PAD src0_sel:WORD_0 src1_sel:DWORD
	v_lshlrev_b32_e32 v219, 3, v24
	;; [unrolled: 5-line block ×3, first 2 shown]
	v_lshrrev_b32_e32 v24, 20, v48
	v_mul_lo_u16_e32 v24, 52, v24
	v_sub_u16_e32 v24, v169, v24
	v_lshlrev_b32_e32 v221, 3, v24
	v_mul_u32_u24_sdwa v24, v159, s0 dst_sel:DWORD dst_unused:UNUSED_PAD src0_sel:WORD_0 src1_sel:DWORD
	v_lshrrev_b32_e32 v24, 20, v24
	v_mul_lo_u16_e32 v24, 52, v24
	v_sub_u16_e32 v24, v159, v24
	v_lshlrev_b32_e32 v222, 3, v24
	v_mul_u32_u24_sdwa v24, v161, s0 dst_sel:DWORD dst_unused:UNUSED_PAD src0_sel:WORD_0 src1_sel:DWORD
	v_lshlrev_b32_e32 v52, 3, v208
	v_lshrrev_b32_e32 v24, 20, v24
	s_waitcnt lgkmcnt(0)
	; wave barrier
	s_waitcnt lgkmcnt(0)
	global_load_dwordx2 v[145:146], v52, s[14:15] offset:400
	global_load_dwordx2 v[149:150], v217, s[14:15] offset:400
	;; [unrolled: 1-line block ×4, first 2 shown]
	v_mul_lo_u16_e32 v24, 52, v24
	v_sub_u16_e32 v24, v161, v24
	global_load_dwordx2 v[147:148], v253, s[14:15] offset:400
	v_lshlrev_b32_e32 v223, 3, v24
	v_mul_u32_u24_sdwa v24, v163, s0 dst_sel:DWORD dst_unused:UNUSED_PAD src0_sel:WORD_0 src1_sel:DWORD
	v_lshrrev_b32_e32 v24, 20, v24
	v_mul_lo_u16_e32 v24, 52, v24
	v_sub_u16_e32 v24, v163, v24
	global_load_dwordx2 v[155:156], v220, s[14:15] offset:400
	global_load_dwordx2 v[157:158], v221, s[14:15] offset:400
	;; [unrolled: 1-line block ×4, first 2 shown]
	v_lshlrev_b32_e32 v224, 3, v24
	v_mul_u32_u24_sdwa v24, v167, s0 dst_sel:DWORD dst_unused:UNUSED_PAD src0_sel:WORD_0 src1_sel:DWORD
	v_lshrrev_b32_e32 v24, 20, v24
	v_mul_lo_u16_e32 v24, 52, v24
	v_sub_u16_e32 v24, v167, v24
	global_load_dwordx2 v[163:164], v224, s[14:15] offset:400
	v_lshlrev_b32_e32 v225, 3, v24
	global_load_dwordx2 v[167:168], v225, s[14:15] offset:400
	v_add_u32_e32 v232, 0x1000, v207
	ds_read2_b64 v[28:31], v207 offset1:52
	ds_read2_b64 v[32:35], v232 offset0:112 offset1:164
	ds_read2_b64 v[36:39], v207 offset0:104 offset1:156
	v_add_u32_e32 v25, 0x1400, v207
	ds_read2_b64 v[53:56], v25 offset0:88 offset1:140
	v_add_u32_e32 v233, 0x1800, v207
	;; [unrolled: 2-line block ×3, first 2 shown]
	v_add_u32_e32 v76, 0x800, v207
	ds_read2_b64 v[57:60], v234 offset0:80 offset1:132
	ds_read2_b64 v[65:68], v76 offset0:56 offset1:108
	;; [unrolled: 1-line block ×4, first 2 shown]
	v_add_u32_e32 v24, 0x2000, v207
	ds_read2_b64 v[182:185], v24 offset0:16 offset1:68
	ds_read2_b64 v[186:189], v232 offset0:8 offset1:60
	;; [unrolled: 1-line block ×3, first 2 shown]
	s_waitcnt lgkmcnt(0)
	; wave barrier
	s_waitcnt lgkmcnt(0)
	v_lshrrev_b32_e32 v40, 21, v40
	v_mul_lo_u16_e32 v40, 0x68, v40
	v_sub_u16_e32 v201, v171, v40
	v_lshrrev_b32_e32 v44, 21, v44
	v_lshlrev_b16_e32 v40, 4, v201
	v_mul_lo_u16_e32 v44, 0x68, v44
	v_sub_u16_e32 v202, v170, v44
	v_lshrrev_b32_e32 v48, 21, v48
	v_lshlrev_b16_e32 v44, 4, v202
	v_mul_lo_u16_e32 v48, 0x68, v48
	v_sub_u16_e32 v203, v169, v48
	v_lshlrev_b16_e32 v48, 4, v203
	v_add_u32_e32 v235, 0xc00, v207
	v_lshlrev_b32_e32 v229, 3, v201
	v_lshlrev_b32_e32 v230, 3, v202
	;; [unrolled: 1-line block ×3, first 2 shown]
	s_movk_i32 s6, 0x1000
	s_movk_i32 s7, 0x2000
	s_add_u32 s4, s12, 0x2700
	s_addc_u32 s5, s13, 0
	s_waitcnt vmcnt(10)
	v_mul_f32_e32 v41, v33, v146
	v_fma_f32 v41, v32, v145, -v41
	v_mul_f32_e32 v42, v32, v146
	v_mul_f32_e32 v32, v35, v146
	v_fma_f32 v45, v34, v145, -v32
	s_waitcnt vmcnt(9)
	v_mul_f32_e32 v51, v55, v150
	s_waitcnt vmcnt(6)
	v_mul_f32_e32 v32, v54, v148
	v_fma_f32 v47, v53, v147, -v32
	v_mul_f32_e32 v32, v56, v150
	v_fma_f32 v50, v55, v149, -v32
	v_mul_f32_e32 v32, v62, v152
	v_mul_f32_e32 v49, v53, v148
	v_fma_f32 v53, v61, v151, -v32
	v_mul_f32_e32 v32, v64, v154
	v_fma_f32 v55, v63, v153, -v32
	s_waitcnt vmcnt(5)
	v_mul_f32_e32 v32, v175, v156
	v_fmac_f32_e32 v49, v54, v147
	v_mul_f32_e32 v54, v61, v152
	v_fma_f32 v61, v174, v155, -v32
	s_waitcnt vmcnt(4)
	v_mul_f32_e32 v32, v177, v158
	v_fmac_f32_e32 v51, v56, v149
	v_mul_f32_e32 v56, v63, v154
	v_fma_f32 v63, v176, v157, -v32
	s_waitcnt vmcnt(3)
	v_mul_f32_e32 v32, v183, v160
	v_fma_f32 v69, v182, v159, -v32
	s_waitcnt vmcnt(2)
	v_mul_f32_e32 v32, v185, v162
	v_fma_f32 v71, v184, v161, -v32
	s_waitcnt vmcnt(1)
	v_mul_f32_e32 v32, v191, v164
	v_fmac_f32_e32 v42, v33, v145
	v_mul_f32_e32 v46, v34, v146
	v_fma_f32 v77, v190, v163, -v32
	s_waitcnt vmcnt(0)
	v_mul_f32_e32 v32, v193, v168
	v_fmac_f32_e32 v46, v35, v145
	v_fma_f32 v86, v192, v167, -v32
	v_sub_f32_e32 v32, v28, v41
	v_sub_f32_e32 v33, v29, v42
	v_fma_f32 v28, v28, 2.0, -v32
	v_fma_f32 v29, v29, 2.0, -v33
	v_sub_f32_e32 v34, v30, v45
	v_sub_f32_e32 v35, v31, v46
	;; [unrolled: 1-line block ×4, first 2 shown]
	v_fmac_f32_e32 v54, v62, v151
	v_fma_f32 v30, v30, 2.0, -v34
	v_fma_f32 v31, v31, 2.0, -v35
	;; [unrolled: 1-line block ×4, first 2 shown]
	v_sub_f32_e32 v45, v38, v50
	v_sub_f32_e32 v46, v39, v51
	ds_write2_b64 v207, v[28:29], v[32:33] offset1:52
	ds_write2_b64 v207, v[30:31], v[34:35] offset0:104 offset1:156
	v_add_u32_e32 v28, 0x400, v253
	v_fmac_f32_e32 v56, v64, v153
	v_mul_f32_e32 v62, v174, v156
	v_fma_f32 v38, v38, 2.0, -v45
	v_fma_f32 v39, v39, 2.0, -v46
	v_sub_f32_e32 v49, v57, v53
	v_sub_f32_e32 v50, v58, v54
	ds_write2_b64 v28, v[36:37], v[41:42] offset0:80 offset1:132
	v_add_u32_e32 v28, 0x800, v217
	v_fmac_f32_e32 v62, v175, v155
	v_mul_f32_e32 v64, v176, v158
	v_fma_f32 v53, v57, 2.0, -v49
	v_fma_f32 v54, v58, 2.0, -v50
	v_sub_f32_e32 v55, v59, v55
	v_sub_f32_e32 v56, v60, v56
	;; [unrolled: 8-line block ×6, first 2 shown]
	ds_write2_b64 v28, v[65:66], v[63:64] offset0:88 offset1:140
	v_add_u32_e32 v28, 0x1800, v222
	v_fmac_f32_e32 v87, v193, v167
	v_fma_f32 v80, v180, 2.0, -v74
	v_fma_f32 v81, v181, 2.0, -v75
	v_sub_f32_e32 v82, v186, v77
	v_sub_f32_e32 v83, v187, v83
	ds_write2_b64 v28, v[69:70], v[67:68] offset0:64 offset1:116
	v_add_u32_e32 v28, 0x1800, v223
	v_fma_f32 v84, v186, 2.0, -v82
	v_fma_f32 v85, v187, 2.0, -v83
	v_sub_f32_e32 v86, v188, v86
	v_sub_f32_e32 v87, v189, v87
	ds_write2_b64 v28, v[80:81], v[74:75] offset0:168 offset1:220
	v_add_u32_e32 v28, 0x2000, v224
	v_fma_f32 v88, v188, 2.0, -v86
	v_fma_f32 v89, v189, 2.0, -v87
	ds_write2_b64 v28, v[84:85], v[82:83] offset0:16 offset1:68
	v_add_u32_e32 v28, 0x2000, v225
	ds_write2_b64 v28, v[88:89], v[86:87] offset0:120 offset1:172
	v_lshlrev_b32_e32 v28, 3, v173
	s_waitcnt lgkmcnt(0)
	; wave barrier
	s_waitcnt lgkmcnt(0)
	global_load_dwordx4 v[28:31], v28, s[14:15] offset:816
	s_nop 0
	global_load_dwordx4 v[32:35], v79, s[14:15] offset:816
	v_lshrrev_b32_e32 v36, 21, v43
	v_mul_lo_u16_e32 v36, 0x68, v36
	v_sub_u16_e32 v77, v172, v36
	v_lshlrev_b16_e32 v36, 4, v77
	v_mov_b32_e32 v53, s15
	v_add_co_u32_e64 v36, s[0:1], s14, v36
	v_addc_co_u32_e64 v37, s[0:1], 0, v53, s[0:1]
	global_load_dwordx4 v[36:39], v[36:37], off offset:816
	v_add_co_u32_e64 v40, s[0:1], s14, v40
	v_addc_co_u32_e64 v41, s[0:1], 0, v53, s[0:1]
	global_load_dwordx4 v[40:43], v[40:41], off offset:816
	v_add_co_u32_e64 v44, s[0:1], s14, v44
	v_addc_co_u32_e64 v45, s[0:1], 0, v53, s[0:1]
	global_load_dwordx4 v[44:47], v[44:45], off offset:816
	v_add_co_u32_e64 v48, s[0:1], s14, v48
	v_addc_co_u32_e64 v49, s[0:1], 0, v53, s[0:1]
	global_load_dwordx4 v[48:51], v[48:49], off offset:816
	ds_read2_b64 v[54:57], v207 offset1:52
	ds_read2_b64 v[58:61], v76 offset0:160 offset1:212
	ds_read2_b64 v[62:65], v233 offset0:64 offset1:116
	ds_read2_b64 v[66:69], v207 offset0:104 offset1:156
	ds_read2_b64 v[169:172], v232 offset0:8 offset1:60
	ds_read2_b64 v[173:176], v233 offset0:168 offset1:220
	ds_read2_b64 v[177:180], v234 offset0:80 offset1:132
	ds_read2_b64 v[181:184], v232 offset0:112 offset1:164
	ds_read2_b64 v[185:188], v24 offset0:16 offset1:68
	ds_read2_b64 v[189:192], v76 offset0:56 offset1:108
	ds_read2_b64 v[193:196], v25 offset0:88 offset1:140
	ds_read2_b64 v[197:200], v24 offset0:120 offset1:172
	v_lshlrev_b32_e32 v228, 3, v77
	s_waitcnt lgkmcnt(0)
	; wave barrier
	s_waitcnt vmcnt(5) lgkmcnt(0)
	v_mul_f32_e32 v70, v59, v29
	v_fma_f32 v70, v58, v28, -v70
	v_mul_f32_e32 v71, v58, v29
	v_mul_f32_e32 v58, v63, v31
	v_fma_f32 v74, v62, v30, -v58
	s_waitcnt vmcnt(4)
	v_mul_f32_e32 v58, v61, v33
	v_fma_f32 v75, v60, v32, -v58
	v_mul_f32_e32 v58, v65, v35
	v_fma_f32 v81, v64, v34, -v58
	;; [unrolled: 2-line block ×6, first 2 shown]
	s_waitcnt vmcnt(3)
	v_mul_f32_e32 v58, v182, v37
	v_fma_f32 v91, v181, v36, -v58
	v_mul_f32_e32 v58, v186, v39
	v_fma_f32 v93, v185, v38, -v58
	s_waitcnt vmcnt(2)
	v_mul_f32_e32 v58, v184, v41
	v_mul_f32_e32 v84, v169, v29
	v_fma_f32 v95, v183, v40, -v58
	v_mul_f32_e32 v58, v188, v43
	v_fmac_f32_e32 v84, v170, v28
	v_mul_f32_e32 v88, v171, v33
	v_fma_f32 v170, v187, v42, -v58
	s_waitcnt vmcnt(1)
	v_mul_f32_e32 v58, v194, v45
	v_mul_f32_e32 v86, v173, v31
	v_fmac_f32_e32 v88, v172, v32
	v_fma_f32 v172, v193, v44, -v58
	v_mul_f32_e32 v58, v198, v47
	v_fmac_f32_e32 v86, v174, v30
	v_mul_f32_e32 v90, v175, v35
	v_fma_f32 v174, v197, v46, -v58
	s_waitcnt vmcnt(0)
	v_mul_f32_e32 v58, v196, v49
	v_fmac_f32_e32 v71, v59, v28
	v_mul_f32_e32 v62, v62, v31
	v_fmac_f32_e32 v90, v176, v34
	v_mul_f32_e32 v92, v181, v37
	v_fma_f32 v176, v195, v48, -v58
	v_mul_f32_e32 v58, v200, v51
	v_add_f32_e32 v59, v70, v74
	v_fmac_f32_e32 v62, v63, v30
	v_mul_f32_e32 v80, v60, v33
	v_fmac_f32_e32 v92, v182, v36
	v_fma_f32 v182, v199, v50, -v58
	v_add_f32_e32 v58, v54, v70
	v_fma_f32 v54, -0.5, v59, v54
	v_fmac_f32_e32 v80, v61, v32
	v_sub_f32_e32 v59, v71, v62
	v_mov_b32_e32 v60, v54
	v_add_f32_e32 v61, v71, v62
	v_fmac_f32_e32 v60, 0x3f5db3d7, v59
	v_fmac_f32_e32 v54, 0xbf5db3d7, v59
	v_add_f32_e32 v59, v55, v71
	v_fma_f32 v55, -0.5, v61, v55
	v_mul_f32_e32 v82, v64, v35
	v_add_f32_e32 v59, v59, v62
	v_sub_f32_e32 v62, v70, v74
	v_mov_b32_e32 v61, v55
	v_add_f32_e32 v63, v75, v81
	v_fmac_f32_e32 v82, v65, v34
	v_fmac_f32_e32 v61, 0xbf5db3d7, v62
	;; [unrolled: 1-line block ×3, first 2 shown]
	v_add_f32_e32 v62, v56, v75
	v_fma_f32 v56, -0.5, v63, v56
	v_sub_f32_e32 v63, v80, v82
	v_mov_b32_e32 v64, v56
	v_add_f32_e32 v65, v80, v82
	v_fmac_f32_e32 v64, 0x3f5db3d7, v63
	v_fmac_f32_e32 v56, 0xbf5db3d7, v63
	v_add_f32_e32 v63, v57, v80
	v_fmac_f32_e32 v57, -0.5, v65
	v_sub_f32_e32 v70, v75, v81
	v_mov_b32_e32 v65, v57
	v_add_f32_e32 v71, v83, v85
	v_fmac_f32_e32 v65, 0xbf5db3d7, v70
	v_fmac_f32_e32 v57, 0x3f5db3d7, v70
	v_add_f32_e32 v70, v66, v83
	v_fma_f32 v66, -0.5, v71, v66
	v_add_f32_e32 v58, v58, v74
	v_sub_f32_e32 v71, v84, v86
	v_mov_b32_e32 v74, v66
	v_add_f32_e32 v75, v84, v86
	v_fmac_f32_e32 v74, 0x3f5db3d7, v71
	v_fmac_f32_e32 v66, 0xbf5db3d7, v71
	v_add_f32_e32 v71, v67, v84
	v_fma_f32 v67, -0.5, v75, v67
	v_add_f32_e32 v62, v62, v81
	v_sub_f32_e32 v80, v83, v85
	v_mov_b32_e32 v75, v67
	v_add_f32_e32 v81, v87, v89
	v_mul_f32_e32 v94, v185, v39
	v_fmac_f32_e32 v75, 0xbf5db3d7, v80
	v_fmac_f32_e32 v67, 0x3f5db3d7, v80
	v_add_f32_e32 v80, v68, v87
	v_fma_f32 v68, -0.5, v81, v68
	v_fmac_f32_e32 v94, v186, v38
	v_add_f32_e32 v63, v63, v82
	v_sub_f32_e32 v81, v88, v90
	v_mov_b32_e32 v82, v68
	v_add_f32_e32 v83, v88, v90
	v_fmac_f32_e32 v82, 0x3f5db3d7, v81
	v_fmac_f32_e32 v68, 0xbf5db3d7, v81
	v_add_f32_e32 v81, v69, v88
	v_fmac_f32_e32 v69, -0.5, v83
	v_sub_f32_e32 v84, v87, v89
	v_add_f32_e32 v87, v92, v94
	v_add_f32_e32 v70, v70, v85
	v_mov_b32_e32 v83, v69
	v_add_f32_e32 v85, v91, v93
	v_fma_f32 v87, -0.5, v87, v178
	v_mul_f32_e32 v169, v183, v41
	v_mul_f32_e32 v171, v187, v43
	v_add_f32_e32 v71, v71, v86
	v_add_f32_e32 v80, v80, v89
	;; [unrolled: 1-line block ×3, first 2 shown]
	v_fmac_f32_e32 v83, 0xbf5db3d7, v84
	v_fmac_f32_e32 v69, 0x3f5db3d7, v84
	v_add_f32_e32 v84, v177, v91
	v_fma_f32 v86, -0.5, v85, v177
	v_sub_f32_e32 v90, v91, v93
	v_mov_b32_e32 v89, v87
	v_add_f32_e32 v91, v95, v170
	v_fmac_f32_e32 v169, v184, v40
	v_fmac_f32_e32 v171, v188, v42
	v_sub_f32_e32 v85, v92, v94
	v_mov_b32_e32 v88, v86
	v_fmac_f32_e32 v89, 0xbf5db3d7, v90
	v_fmac_f32_e32 v87, 0x3f5db3d7, v90
	v_add_f32_e32 v90, v179, v95
	v_fma_f32 v179, -0.5, v91, v179
	v_mul_f32_e32 v173, v193, v45
	v_mul_f32_e32 v175, v197, v47
	v_add_f32_e32 v84, v84, v93
	v_fmac_f32_e32 v88, 0x3f5db3d7, v85
	v_fmac_f32_e32 v86, 0xbf5db3d7, v85
	v_add_f32_e32 v85, v178, v92
	v_sub_f32_e32 v91, v169, v171
	v_mov_b32_e32 v92, v179
	v_add_f32_e32 v93, v169, v171
	v_fmac_f32_e32 v173, v194, v44
	v_fmac_f32_e32 v175, v198, v46
	v_add_f32_e32 v85, v85, v94
	v_fmac_f32_e32 v92, 0x3f5db3d7, v91
	v_fmac_f32_e32 v179, 0xbf5db3d7, v91
	v_add_f32_e32 v91, v180, v169
	v_fmac_f32_e32 v180, -0.5, v93
	v_sub_f32_e32 v94, v95, v170
	v_add_f32_e32 v95, v172, v174
	v_add_f32_e32 v90, v90, v170
	v_mov_b32_e32 v93, v180
	v_fma_f32 v169, -0.5, v95, v189
	v_add_f32_e32 v170, v173, v175
	v_add_f32_e32 v91, v91, v171
	v_fmac_f32_e32 v93, 0xbf5db3d7, v94
	v_fmac_f32_e32 v180, 0x3f5db3d7, v94
	v_add_f32_e32 v94, v189, v172
	v_sub_f32_e32 v95, v173, v175
	v_mov_b32_e32 v171, v169
	v_fma_f32 v170, -0.5, v170, v190
	v_mul_f32_e32 v181, v195, v49
	v_mul_f32_e32 v183, v199, v51
	v_add_f32_e32 v94, v94, v174
	v_fmac_f32_e32 v171, 0x3f5db3d7, v95
	v_fmac_f32_e32 v169, 0xbf5db3d7, v95
	v_add_f32_e32 v95, v190, v173
	v_sub_f32_e32 v173, v172, v174
	v_mov_b32_e32 v172, v170
	v_add_f32_e32 v174, v176, v182
	v_fmac_f32_e32 v181, v196, v48
	v_fmac_f32_e32 v183, v200, v50
	;; [unrolled: 1-line block ×4, first 2 shown]
	v_add_f32_e32 v173, v191, v176
	v_fma_f32 v191, -0.5, v174, v191
	v_add_f32_e32 v95, v95, v175
	v_sub_f32_e32 v174, v181, v183
	v_mov_b32_e32 v175, v191
	v_add_f32_e32 v177, v181, v183
	ds_write_b64 v207, v[60:61] offset:832
	ds_write_b64 v207, v[54:55] offset:1664
	ds_write2_b64 v207, v[58:59], v[62:63] offset1:52
	ds_write_b64 v207, v[64:65] offset:1248
	ds_write2_b64 v76, v[56:57], v[70:71] offset0:4 offset1:56
	ds_write2_b64 v76, v[80:81], v[74:75] offset0:108 offset1:160
	v_add_u32_e32 v54, 0x1000, v228
	v_fmac_f32_e32 v175, 0x3f5db3d7, v174
	v_fmac_f32_e32 v191, 0xbf5db3d7, v174
	v_add_f32_e32 v174, v192, v181
	v_fmac_f32_e32 v192, -0.5, v177
	ds_write2_b64 v235, v[82:83], v[66:67] offset0:84 offset1:136
	ds_write_b64 v207, v[68:69] offset:4576
	ds_write2_b64 v54, v[84:85], v[88:89] offset0:112 offset1:216
	ds_write_b64 v228, v[86:87] offset:6656
	v_add_u32_e32 v54, 0x1000, v229
	v_sub_f32_e32 v177, v176, v182
	v_mov_b32_e32 v176, v192
	ds_write2_b64 v54, v[90:91], v[92:93] offset0:112 offset1:216
	ds_write_b64 v229, v[179:180] offset:6656
	v_add_u32_e32 v54, 0x1c00, v230
	v_add_f32_e32 v173, v173, v182
	v_add_f32_e32 v174, v174, v183
	v_fmac_f32_e32 v176, 0xbf5db3d7, v177
	ds_write2_b64 v54, v[94:95], v[171:172] offset0:40 offset1:144
	ds_write_b64 v230, v[169:170] offset:9152
	v_add_u32_e32 v54, 0x1c00, v231
	v_fmac_f32_e32 v192, 0x3f5db3d7, v177
	ds_write2_b64 v54, v[173:174], v[175:176] offset0:40 offset1:144
	ds_write_b64 v231, v[191:192] offset:9152
	s_waitcnt lgkmcnt(0)
	; wave barrier
	s_waitcnt lgkmcnt(0)
	global_load_dwordx2 v[169:170], v52, s[14:15] offset:2480
	global_load_dwordx2 v[171:172], v52, s[14:15] offset:2896
	v_add_co_u32_e64 v71, s[0:1], s14, v52
	global_load_dwordx2 v[173:174], v52, s[14:15] offset:3312
	global_load_dwordx2 v[175:176], v52, s[14:15] offset:3728
	v_addc_co_u32_e64 v77, s[0:1], 0, v53, s[0:1]
	v_add_co_u32_e64 v69, s[0:1], s6, v71
	v_addc_co_u32_e64 v70, s[0:1], 0, v77, s[0:1]
	global_load_dwordx2 v[177:178], v[69:70], off offset:48
	global_load_dwordx2 v[179:180], v[69:70], off offset:464
	ds_read2_b64 v[53:56], v207 offset1:52
	ds_read2_b64 v[57:60], v232 offset0:112 offset1:164
	ds_read2_b64 v[61:64], v207 offset0:104 offset1:156
	;; [unrolled: 1-line block ×11, first 2 shown]
	s_waitcnt lgkmcnt(0)
	; wave barrier
	s_waitcnt vmcnt(5) lgkmcnt(0)
	v_mul_f32_e32 v74, v58, v170
	v_fma_f32 v74, v57, v169, -v74
	v_mul_f32_e32 v75, v57, v170
	s_waitcnt vmcnt(4)
	v_mul_f32_e32 v57, v60, v172
	v_fma_f32 v80, v59, v171, -v57
	s_waitcnt vmcnt(3)
	v_mul_f32_e32 v57, v66, v174
	v_fma_f32 v82, v65, v173, -v57
	;; [unrolled: 3-line block ×3, first 2 shown]
	v_mul_f32_e32 v83, v65, v174
	v_mul_f32_e32 v91, v193, v170
	s_waitcnt vmcnt(1)
	v_mul_f32_e32 v57, v186, v178
	v_fma_f32 v86, v185, v177, -v57
	s_waitcnt vmcnt(0)
	v_mul_f32_e32 v57, v188, v180
	v_fma_f32 v88, v187, v179, -v57
	v_mul_f32_e32 v57, v194, v170
	v_fma_f32 v90, v193, v169, -v57
	;; [unrolled: 2-line block ×4, first 2 shown]
	v_mul_f32_e32 v57, v204, v176
	v_mul_f32_e32 v87, v185, v178
	;; [unrolled: 1-line block ×4, first 2 shown]
	v_fma_f32 v185, v203, v175, -v57
	v_mul_f32_e32 v57, v241, v178
	v_fmac_f32_e32 v75, v58, v169
	v_fmac_f32_e32 v83, v66, v173
	v_mul_f32_e32 v85, v67, v176
	v_fmac_f32_e32 v87, v186, v177
	v_fmac_f32_e32 v89, v188, v179
	;; [unrolled: 1-line block ×4, first 2 shown]
	v_mul_f32_e32 v95, v201, v174
	v_mul_f32_e32 v186, v203, v176
	v_fma_f32 v187, v240, v177, -v57
	v_mul_f32_e32 v188, v240, v178
	v_mul_f32_e32 v57, v243, v180
	;; [unrolled: 1-line block ×4, first 2 shown]
	v_fmac_f32_e32 v85, v68, v175
	v_fmac_f32_e32 v95, v202, v173
	;; [unrolled: 1-line block ×4, first 2 shown]
	v_fma_f32 v193, v242, v179, -v57
	v_fmac_f32_e32 v194, v243, v179
	v_sub_f32_e32 v57, v53, v74
	v_sub_f32_e32 v58, v54, v75
	;; [unrolled: 1-line block ×12, first 2 shown]
	v_fmac_f32_e32 v81, v60, v171
	v_sub_f32_e32 v67, v63, v84
	v_sub_f32_e32 v68, v64, v85
	v_fma_f32 v84, v183, 2.0, -v82
	v_fma_f32 v85, v184, 2.0, -v83
	;; [unrolled: 1-line block ×4, first 2 shown]
	v_sub_f32_e32 v94, v197, v94
	v_sub_f32_e32 v95, v198, v95
	;; [unrolled: 1-line block ×10, first 2 shown]
	v_fma_f32 v80, v181, 2.0, -v74
	v_fma_f32 v81, v182, 2.0, -v75
	;; [unrolled: 1-line block ×12, first 2 shown]
	v_add_u32_e32 v236, 0x1c00, v207
	v_fma_f32 v53, v53, 2.0, -v57
	v_fma_f32 v54, v54, 2.0, -v58
	;; [unrolled: 1-line block ×8, first 2 shown]
	ds_write_b64 v207, v[57:58] offset:2496
	ds_write2_b64 v207, v[53:54], v[55:56] offset1:52
	ds_write2_b64 v76, v[59:60], v[65:66] offset0:108 offset1:160
	ds_write2_b64 v207, v[61:62], v[63:64] offset0:104 offset1:156
	;; [unrolled: 1-line block ×10, first 2 shown]
	ds_write_b64 v207, v[191:192] offset:9568
	s_waitcnt lgkmcnt(0)
	; wave barrier
	s_waitcnt lgkmcnt(0)
	global_load_dwordx2 v[181:182], v[69:70], off offset:880
	global_load_dwordx2 v[183:184], v[69:70], off offset:1296
	;; [unrolled: 1-line block ×8, first 2 shown]
	v_add_co_u32_e64 v53, s[0:1], s7, v71
	v_addc_co_u32_e64 v54, s[0:1], 0, v77, s[0:1]
	global_load_dwordx2 v[197:198], v[53:54], off offset:112
	global_load_dwordx2 v[199:200], v[53:54], off offset:528
	;; [unrolled: 1-line block ×4, first 2 shown]
	ds_read2_b64 v[53:56], v207 offset1:52
	ds_read2_b64 v[57:60], v232 offset0:112 offset1:164
	ds_read2_b64 v[61:64], v207 offset0:104 offset1:156
	;; [unrolled: 1-line block ×11, first 2 shown]
	s_waitcnt vmcnt(11) lgkmcnt(10)
	v_mul_f32_e32 v69, v58, v182
	v_fma_f32 v69, v57, v181, -v69
	v_mul_f32_e32 v70, v57, v182
	s_waitcnt vmcnt(10)
	v_mul_f32_e32 v57, v60, v184
	v_fma_f32 v71, v59, v183, -v57
	s_waitcnt vmcnt(9) lgkmcnt(8)
	v_mul_f32_e32 v57, v66, v186
	v_fma_f32 v75, v65, v185, -v57
	s_waitcnt vmcnt(8)
	v_mul_f32_e32 v57, v68, v188
	v_fma_f32 v209, v67, v187, -v57
	s_waitcnt vmcnt(7) lgkmcnt(6)
	v_mul_f32_e32 v57, v242, v190
	v_fma_f32 v211, v241, v189, -v57
	s_waitcnt vmcnt(6)
	v_mul_f32_e32 v57, v244, v192
	v_fma_f32 v213, v243, v191, -v57
	s_waitcnt vmcnt(5) lgkmcnt(4)
	v_mul_f32_e32 v57, v250, v194
	v_fma_f32 v215, v249, v193, -v57
	s_waitcnt vmcnt(4)
	v_mul_f32_e32 v57, v252, v196
	v_mul_f32_e32 v212, v241, v190
	v_fma_f32 v241, v251, v195, -v57
	s_waitcnt vmcnt(3) lgkmcnt(2)
	v_mul_f32_e32 v57, v85, v198
	v_mul_f32_e32 v214, v243, v192
	v_fma_f32 v243, v84, v197, -v57
	s_waitcnt vmcnt(2)
	v_mul_f32_e32 v57, v87, v200
	v_fmac_f32_e32 v212, v242, v189
	v_mul_f32_e32 v216, v249, v194
	v_mul_f32_e32 v242, v251, v196
	v_fma_f32 v249, v86, v199, -v57
	s_waitcnt vmcnt(1) lgkmcnt(0)
	v_mul_f32_e32 v57, v93, v202
	v_fmac_f32_e32 v70, v58, v181
	v_mul_f32_e32 v74, v59, v184
	v_mul_f32_e32 v77, v65, v186
	;; [unrolled: 1-line block ×3, first 2 shown]
	v_fmac_f32_e32 v214, v244, v191
	v_fmac_f32_e32 v216, v250, v193
	;; [unrolled: 1-line block ×3, first 2 shown]
	v_mul_f32_e32 v244, v84, v198
	v_mul_f32_e32 v250, v86, v200
	v_fma_f32 v251, v92, v201, -v57
	v_mul_f32_e32 v252, v92, v202
	s_waitcnt vmcnt(0)
	v_mul_f32_e32 v57, v95, v204
	v_mul_f32_e32 v205, v94, v204
	v_fmac_f32_e32 v74, v60, v183
	v_fmac_f32_e32 v77, v66, v185
	;; [unrolled: 1-line block ×6, first 2 shown]
	v_fma_f32 v78, v94, v203, -v57
	v_fmac_f32_e32 v205, v95, v203
	v_sub_f32_e32 v57, v53, v69
	v_sub_f32_e32 v58, v54, v70
	;; [unrolled: 1-line block ×12, first 2 shown]
	v_fma_f32 v74, v237, 2.0, -v69
	v_fma_f32 v75, v238, 2.0, -v70
	;; [unrolled: 1-line block ×4, first 2 shown]
	v_sub_f32_e32 v92, v245, v215
	v_sub_f32_e32 v93, v246, v216
	;; [unrolled: 1-line block ×12, first 2 shown]
	v_fma_f32 v53, v53, 2.0, -v57
	v_fma_f32 v54, v54, 2.0, -v58
	;; [unrolled: 1-line block ×20, first 2 shown]
	ds_write_b64 v207, v[57:58] offset:4992
	ds_write2_b64 v207, v[53:54], v[55:56] offset1:52
	ds_write2_b64 v232, v[59:60], v[65:66] offset0:164 offset1:216
	ds_write2_b64 v207, v[61:62], v[63:64] offset0:104 offset1:156
	;; [unrolled: 1-line block ×10, first 2 shown]
	ds_write_b64 v207, v[239:240] offset:9568
	s_waitcnt lgkmcnt(0)
	; wave barrier
	s_waitcnt lgkmcnt(0)
	global_load_dwordx2 v[57:58], v52, s[4:5]
	v_add_co_u32_e64 v71, s[0:1], s4, v52
	v_mov_b32_e32 v53, s5
	v_addc_co_u32_e64 v77, s[0:1], 0, v53, s[0:1]
	v_add_co_u32_e64 v61, s[0:1], s6, v71
	v_addc_co_u32_e64 v62, s[0:1], 0, v77, s[0:1]
	global_load_dwordx2 v[63:64], v[61:62], off offset:896
	global_load_dwordx2 v[65:66], v52, s[4:5] offset:416
	global_load_dwordx2 v[67:68], v[61:62], off offset:1312
	global_load_dwordx2 v[69:70], v52, s[4:5] offset:832
	;; [unrolled: 2-line block ×4, first 2 shown]
	global_load_dwordx2 v[86:87], v227, s[4:5]
	global_load_dwordx2 v[88:89], v52, s[4:5] offset:2080
	global_load_dwordx2 v[90:91], v[61:62], off offset:2976
	ds_read2_b64 v[53:56], v207 offset1:52
	global_load_dwordx2 v[92:93], v52, s[4:5] offset:2496
	global_load_dwordx2 v[209:210], v52, s[4:5] offset:2912
	global_load_dwordx2 v[94:95], v[61:62], off offset:3392
	global_load_dwordx2 v[213:214], v[61:62], off offset:3808
	v_add_co_u32_e64 v237, s[0:1], s7, v71
	v_addc_co_u32_e64 v238, s[0:1], 0, v77, s[0:1]
	global_load_dwordx2 v[239:240], v[237:238], off offset:128
	s_waitcnt vmcnt(16) lgkmcnt(0)
	v_mul_f32_e32 v59, v54, v58
	v_mul_f32_e32 v60, v53, v58
	v_fma_f32 v59, v53, v57, -v59
	v_fmac_f32_e32 v60, v54, v57
	ds_write_b64 v207, v[59:60]
	ds_read2_b64 v[57:60], v232 offset0:112 offset1:164
	s_waitcnt vmcnt(14)
	v_mul_f32_e32 v216, v55, v66
	v_fmac_f32_e32 v216, v56, v65
	s_waitcnt lgkmcnt(0)
	v_mul_f32_e32 v53, v58, v64
	v_mul_f32_e32 v212, v57, v64
	v_fma_f32 v211, v57, v63, -v53
	v_fmac_f32_e32 v212, v58, v63
	v_mul_f32_e32 v53, v56, v66
	global_load_dwordx2 v[63:64], v52, s[4:5] offset:3328
	v_fma_f32 v215, v55, v65, -v53
	global_load_dwordx2 v[65:66], v52, s[4:5] offset:3744
	ds_read2_b64 v[53:56], v207 offset0:104 offset1:156
	s_waitcnt vmcnt(15)
	v_mul_f32_e32 v57, v60, v68
	v_mul_f32_e32 v242, v59, v68
	v_fma_f32 v241, v59, v67, -v57
	v_fmac_f32_e32 v242, v60, v67
	global_load_dwordx2 v[67:68], v[237:238], off offset:544
	ds_read2_b64 v[57:60], v25 offset0:88 offset1:140
	s_waitcnt vmcnt(15) lgkmcnt(1)
	v_mul_f32_e32 v52, v54, v70
	v_fma_f32 v52, v53, v69, -v52
	v_mul_f32_e32 v53, v53, v70
	v_fmac_f32_e32 v53, v54, v69
	global_load_dwordx2 v[70:71], v[61:62], off offset:64
	ds_write2_b64 v207, v[215:216], v[52:53] offset0:52 offset1:104
	s_waitcnt vmcnt(15) lgkmcnt(1)
	v_mul_f32_e32 v52, v58, v75
	v_mul_f32_e32 v53, v57, v75
	v_fma_f32 v52, v57, v74, -v52
	global_load_dwordx2 v[215:216], v[237:238], off offset:960
	v_fmac_f32_e32 v53, v58, v74
	ds_write2_b64 v232, v[241:242], v[52:53] offset0:164 offset1:216
	s_waitcnt vmcnt(15)
	v_mul_f32_e32 v52, v56, v81
	v_mul_f32_e32 v75, v55, v81
	v_fma_f32 v74, v55, v80, -v52
	v_fmac_f32_e32 v75, v56, v80
	global_load_dwordx2 v[80:81], v[237:238], off offset:1376
	s_waitcnt vmcnt(15)
	v_mul_f32_e32 v56, v60, v83
	global_load_dwordx2 v[61:62], v[61:62], off offset:480
	ds_read2_b64 v[52:55], v234 offset0:80 offset1:132
	v_fma_f32 v237, v59, v82, -v56
	v_mul_f32_e32 v238, v59, v83
	ds_read2_b64 v[56:59], v233 offset0:64 offset1:116
	v_fmac_f32_e32 v238, v60, v82
	s_waitcnt vmcnt(15) lgkmcnt(1)
	v_mul_f32_e32 v60, v53, v85
	v_mul_f32_e32 v83, v52, v85
	v_fma_f32 v82, v52, v84, -v60
	v_fmac_f32_e32 v83, v53, v84
	s_waitcnt vmcnt(14) lgkmcnt(0)
	v_mul_f32_e32 v52, v57, v87
	v_mul_f32_e32 v53, v56, v87
	v_fma_f32 v52, v56, v86, -v52
	v_fmac_f32_e32 v53, v57, v86
	ds_write2_b64 v207, v[74:75], v[82:83] offset0:156 offset1:208
	ds_write2_b64 v233, v[237:238], v[52:53] offset0:12 offset1:64
	s_waitcnt vmcnt(13)
	v_mul_f32_e32 v52, v55, v89
	v_mul_f32_e32 v75, v54, v89
	v_fma_f32 v74, v54, v88, -v52
	v_fmac_f32_e32 v75, v55, v88
	ds_read2_b64 v[52:55], v76 offset0:56 offset1:108
	s_waitcnt vmcnt(12)
	v_mul_f32_e32 v56, v59, v91
	v_mul_f32_e32 v83, v58, v91
	v_fma_f32 v82, v58, v90, -v56
	v_fmac_f32_e32 v83, v59, v90
	ds_read2_b64 v[56:59], v233 offset0:168 offset1:220
	s_waitcnt vmcnt(11) lgkmcnt(1)
	v_mul_f32_e32 v60, v53, v93
	v_mul_f32_e32 v85, v52, v93
	v_fma_f32 v84, v52, v92, -v60
	v_fmac_f32_e32 v85, v53, v92
	s_waitcnt vmcnt(9) lgkmcnt(0)
	v_mul_f32_e32 v52, v57, v95
	v_mul_f32_e32 v53, v56, v95
	v_fma_f32 v52, v56, v94, -v52
	v_fmac_f32_e32 v53, v57, v94
	ds_write2_b64 v76, v[74:75], v[84:85] offset0:4 offset1:56
	ds_write2_b64 v233, v[82:83], v[52:53] offset0:116 offset1:168
	v_mul_f32_e32 v52, v55, v210
	v_mul_f32_e32 v75, v54, v210
	v_fma_f32 v74, v54, v209, -v52
	v_fmac_f32_e32 v75, v55, v209
	ds_read2_b64 v[52:55], v76 offset0:160 offset1:212
	s_waitcnt vmcnt(8)
	v_mul_f32_e32 v56, v59, v214
	v_mul_f32_e32 v83, v58, v214
	v_fma_f32 v82, v58, v213, -v56
	v_fmac_f32_e32 v83, v59, v213
	ds_read2_b64 v[56:59], v24 offset0:16 offset1:68
	s_waitcnt vmcnt(6) lgkmcnt(1)
	v_mul_f32_e32 v60, v53, v64
	v_mul_f32_e32 v85, v52, v64
	v_fma_f32 v84, v52, v63, -v60
	v_fmac_f32_e32 v85, v53, v63
	s_waitcnt lgkmcnt(0)
	v_mul_f32_e32 v52, v57, v240
	v_mul_f32_e32 v53, v56, v240
	v_fma_f32 v52, v56, v239, -v52
	v_fmac_f32_e32 v53, v57, v239
	ds_write2_b64 v236, v[82:83], v[52:53] offset0:92 offset1:144
	s_waitcnt vmcnt(5)
	v_mul_f32_e32 v52, v55, v66
	v_mul_f32_e32 v64, v54, v66
	v_fma_f32 v63, v54, v65, -v52
	v_fmac_f32_e32 v64, v55, v65
	ds_read2_b64 v[52:55], v232 offset0:8 offset1:60
	s_waitcnt vmcnt(4)
	v_mul_f32_e32 v56, v59, v68
	v_mul_f32_e32 v66, v58, v68
	v_fma_f32 v65, v58, v67, -v56
	v_fmac_f32_e32 v66, v59, v67
	ds_read2_b64 v[56:59], v24 offset0:120 offset1:172
	s_waitcnt vmcnt(3) lgkmcnt(1)
	v_mul_f32_e32 v60, v53, v71
	v_mul_f32_e32 v68, v52, v71
	v_fma_f32 v67, v52, v70, -v60
	v_fmac_f32_e32 v68, v53, v70
	s_waitcnt vmcnt(2) lgkmcnt(0)
	v_mul_f32_e32 v52, v57, v216
	v_mul_f32_e32 v53, v56, v216
	v_fma_f32 v52, v56, v215, -v52
	v_fmac_f32_e32 v53, v57, v215
	ds_write2_b64 v24, v[65:66], v[52:53] offset0:68 offset1:120
	s_waitcnt vmcnt(0)
	v_mul_f32_e32 v52, v55, v62
	v_mul_f32_e32 v53, v54, v62
	v_fma_f32 v52, v54, v61, -v52
	v_fmac_f32_e32 v53, v55, v61
	ds_write2_b64 v232, v[52:53], v[211:212] offset0:60 offset1:112
	v_mul_f32_e32 v52, v59, v81
	v_mul_f32_e32 v53, v58, v81
	v_fma_f32 v52, v58, v80, -v52
	v_fmac_f32_e32 v53, v59, v80
	ds_write2_b64 v76, v[74:75], v[84:85] offset0:108 offset1:160
	ds_write2_b64 v235, v[63:64], v[67:68] offset0:84 offset1:136
	ds_write_b64 v207, v[52:53] offset:9568
	s_waitcnt lgkmcnt(0)
	; wave barrier
	s_waitcnt lgkmcnt(0)
	ds_read2_b64 v[52:55], v207 offset1:52
	ds_read2_b64 v[56:59], v232 offset0:112 offset1:164
	ds_read2_b64 v[60:63], v207 offset0:104 offset1:156
	;; [unrolled: 1-line block ×11, first 2 shown]
	s_waitcnt lgkmcnt(10)
	v_sub_f32_e32 v251, v52, v56
	v_sub_f32_e32 v252, v53, v57
	v_fma_f32 v249, v52, 2.0, -v251
	v_fma_f32 v250, v53, 2.0, -v252
	v_sub_f32_e32 v56, v54, v58
	v_sub_f32_e32 v57, v55, v59
	v_fma_f32 v54, v54, 2.0, -v56
	v_fma_f32 v55, v55, 2.0, -v57
	s_waitcnt lgkmcnt(0)
	; wave barrier
	s_waitcnt lgkmcnt(0)
	ds_write_b128 v206, v[249:252]
	ds_write_b128 v79, v[54:57]
	buffer_load_dword v52, off, s[20:23], 0 offset:4 ; 4-byte Folded Reload
	v_sub_f32_e32 v211, v60, v64
	v_sub_f32_e32 v212, v61, v65
	v_fma_f32 v209, v60, 2.0, -v211
	v_fma_f32 v210, v61, 2.0, -v212
	v_sub_f32_e32 v60, v62, v66
	v_sub_f32_e32 v61, v63, v67
	v_fma_f32 v58, v62, 2.0, -v60
	v_fma_f32 v59, v63, 2.0, -v61
	;; [unrolled: 4-line block ×10, first 2 shown]
	s_waitcnt vmcnt(0)
	ds_write_b128 v52, v[209:212]
	buffer_load_dword v52, off, s[20:23], 0 offset:8 ; 4-byte Folded Reload
	s_waitcnt vmcnt(0)
	ds_write_b128 v52, v[58:61]
	buffer_load_dword v52, off, s[20:23], 0 offset:12 ; 4-byte Folded Reload
	;; [unrolled: 3-line block ×9, first 2 shown]
	s_waitcnt vmcnt(0)
	ds_write_b128 v52, v[243:246]
	s_waitcnt lgkmcnt(0)
	; wave barrier
	s_waitcnt lgkmcnt(0)
	ds_read2_b64 v[52:55], v207 offset1:52
	ds_read2_b64 v[56:59], v232 offset0:112 offset1:164
	ds_read2_b64 v[60:63], v207 offset0:104 offset1:156
	;; [unrolled: 1-line block ×11, first 2 shown]
	s_waitcnt lgkmcnt(6)
	v_mul_f32_e32 v77, v73, v82
	v_fmac_f32_e32 v77, v72, v81
	v_sub_f32_e32 v241, v70, v77
	s_waitcnt lgkmcnt(0)
	; wave barrier
	s_waitcnt lgkmcnt(0)
	buffer_load_dword v77, off, s[20:23], 0 offset:44 ; 4-byte Folded Reload
	v_mul_f32_e32 v74, v73, v81
	v_mul_f32_e32 v24, v73, v57
	;; [unrolled: 1-line block ×3, first 2 shown]
	v_fma_f32 v78, v72, v82, -v74
	v_mul_f32_e32 v74, v73, v87
	v_fmac_f32_e32 v24, v72, v56
	v_fma_f32 v25, v72, v57, -v25
	v_mul_f32_e32 v56, v73, v59
	v_mul_f32_e32 v57, v73, v58
	v_fma_f32 v205, v72, v88, -v74
	v_mul_f32_e32 v74, v73, v89
	v_fmac_f32_e32 v56, v72, v58
	v_fma_f32 v57, v72, v59, -v57
	v_mul_f32_e32 v58, v73, v65
	v_mul_f32_e32 v59, v73, v64
	;; [unrolled: 6-line block ×4, first 2 shown]
	v_mul_f32_e32 v95, v73, v88
	v_mul_f32_e32 v227, v73, v90
	;; [unrolled: 1-line block ×4, first 2 shown]
	v_fma_f32 v249, v72, v212, -v74
	v_mul_f32_e32 v250, v73, v238
	v_mul_f32_e32 v74, v73, v237
	;; [unrolled: 1-line block ×4, first 2 shown]
	v_fmac_f32_e32 v66, v72, v79
	v_fma_f32 v67, v72, v80, -v67
	v_fmac_f32_e32 v95, v72, v87
	v_fmac_f32_e32 v227, v72, v89
	;; [unrolled: 1-line block ×5, first 2 shown]
	v_fma_f32 v251, v72, v238, -v74
	v_fmac_f32_e32 v252, v72, v239
	v_fma_f32 v206, v72, v240, -v73
	v_sub_f32_e32 v72, v52, v24
	v_sub_f32_e32 v73, v53, v25
	v_fma_f32 v74, v52, 2.0, -v72
	v_fma_f32 v75, v53, 2.0, -v73
	v_sub_f32_e32 v79, v54, v56
	v_sub_f32_e32 v80, v55, v57
	v_fma_f32 v81, v54, 2.0, -v79
	v_fma_f32 v82, v55, 2.0, -v80
	;; [unrolled: 4-line block ×5, first 2 shown]
	v_sub_f32_e32 v242, v71, v78
	v_fma_f32 v243, v70, 2.0, -v241
	v_fma_f32 v244, v71, 2.0, -v242
	v_sub_f32_e32 v52, v83, v95
	v_sub_f32_e32 v53, v84, v205
	v_fma_f32 v83, v83, 2.0, -v52
	v_fma_f32 v84, v84, 2.0, -v53
	v_sub_f32_e32 v64, v85, v227
	;; [unrolled: 4-line block ×3, first 2 shown]
	v_sub_f32_e32 v61, v92, v247
	s_waitcnt vmcnt(0)
	ds_write2_b64 v77, v[74:75], v[72:73] offset1:2
	buffer_load_dword v72, off, s[20:23], 0 offset:48 ; 4-byte Folded Reload
	v_fma_f32 v66, v91, 2.0, -v60
	v_fma_f32 v67, v92, 2.0, -v61
	v_sub_f32_e32 v56, v93, v248
	v_sub_f32_e32 v57, v94, v249
	v_fma_f32 v62, v93, 2.0, -v56
	v_fma_f32 v63, v94, 2.0, -v57
	v_sub_f32_e32 v68, v213, v250
	v_sub_f32_e32 v69, v214, v251
	;; [unrolled: 4-line block ×3, first 2 shown]
	v_fma_f32 v70, v215, 2.0, -v24
	v_fma_f32 v71, v216, 2.0, -v25
	s_waitcnt vmcnt(0)
	ds_write2_b64 v72, v[81:82], v[79:80] offset1:2
	buffer_load_dword v72, off, s[20:23], 0 offset:52 ; 4-byte Folded Reload
	s_waitcnt vmcnt(0)
	ds_write2_b64 v72, v[89:90], v[87:88] offset1:2
	buffer_load_dword v72, off, s[20:23], 0 offset:56 ; 4-byte Folded Reload
	;; [unrolled: 3-line block ×10, first 2 shown]
	s_waitcnt vmcnt(0)
	ds_write2_b64 v72, v[70:71], v[24:25] offset1:2
	s_waitcnt lgkmcnt(0)
	; wave barrier
	s_waitcnt lgkmcnt(0)
	ds_read2_b64 v[72:75], v207 offset1:96
	ds_read2_b64 v[92:95], v234 offset0:64 offset1:160
	ds_read2_b64 v[88:91], v76 offset0:128 offset1:224
	;; [unrolled: 1-line block ×3, first 2 shown]
	ds_read2_b64 v[80:83], v233 offset1:96
	ds_read2_b64 v[76:79], v236 offset0:64 offset1:160
	ds_read_b64 v[205:206], v207 offset:9216
	s_and_saveexec_b64 s[0:1], vcc
	s_cbranch_execz .LBB0_7
; %bb.6:
	ds_read2_b64 v[52:55], v207 offset0:52 offset1:148
	ds_read2_b64 v[64:67], v234 offset0:116 offset1:212
	;; [unrolled: 1-line block ×6, first 2 shown]
	ds_read_b64 v[165:166], v207 offset:9632
.LBB0_7:
	s_or_b64 exec, exec, s[0:1]
	s_waitcnt lgkmcnt(6)
	v_mul_f32_e32 v209, v13, v75
	v_fmac_f32_e32 v209, v12, v74
	v_mul_f32_e32 v74, v13, v74
	v_fma_f32 v210, v12, v75, -v74
	s_waitcnt lgkmcnt(5)
	v_mul_f32_e32 v211, v15, v93
	v_mul_f32_e32 v74, v15, v92
	v_fmac_f32_e32 v211, v14, v92
	v_fma_f32 v92, v14, v93, -v74
	v_mul_f32_e32 v93, v9, v95
	v_mul_f32_e32 v74, v9, v94
	v_fmac_f32_e32 v93, v8, v94
	v_fma_f32 v94, v8, v95, -v74
	s_waitcnt lgkmcnt(4)
	v_mul_f32_e32 v95, v11, v89
	v_mul_f32_e32 v74, v11, v88
	v_fmac_f32_e32 v95, v10, v88
	v_fma_f32 v88, v10, v89, -v74
	v_mul_f32_e32 v89, v1, v91
	v_mul_f32_e32 v74, v1, v90
	v_fmac_f32_e32 v89, v0, v90
	;; [unrolled: 9-line block ×5, first 2 shown]
	v_fma_f32 v78, v20, v79, -v74
	s_waitcnt lgkmcnt(0)
	v_mul_f32_e32 v79, v23, v206
	v_mul_f32_e32 v74, v23, v205
	v_add_f32_e32 v75, v73, v210
	v_fmac_f32_e32 v79, v22, v205
	v_fma_f32 v205, v22, v206, -v74
	v_add_f32_e32 v74, v72, v209
	v_add_f32_e32 v75, v75, v92
	;; [unrolled: 1-line block ×23, first 2 shown]
	v_sub_f32_e32 v205, v210, v205
	v_add_f32_e32 v74, v74, v79
	v_add_f32_e32 v206, v209, v79
	v_sub_f32_e32 v79, v209, v79
	v_mul_f32_e32 v209, 0xbeedf032, v205
	v_mul_f32_e32 v215, 0xbf52af12, v205
	;; [unrolled: 1-line block ×6, first 2 shown]
	s_mov_b32 s4, 0x3f62ad3f
	v_mov_b32_e32 v210, v209
	s_mov_b32 s5, 0x3f116cb1
	v_mov_b32_e32 v216, v215
	s_mov_b32 s6, 0x3df6dbef
	v_mov_b32_e32 v234, v233
	s_mov_b32 s7, 0xbeb58ec6
	v_mov_b32_e32 v238, v237
	s_mov_b32 s12, 0xbf3f9e67
	v_mov_b32_e32 v242, v241
	s_mov_b32 s13, 0xbf788fa5
	v_mov_b32_e32 v245, v205
	v_fmac_f32_e32 v210, 0x3f62ad3f, v206
	v_fma_f32 v209, v206, s4, -v209
	v_fmac_f32_e32 v216, 0x3f116cb1, v206
	v_fma_f32 v215, v206, s5, -v215
	;; [unrolled: 2-line block ×6, first 2 shown]
	v_add_f32_e32 v210, v72, v210
	v_mul_f32_e32 v213, 0x3f62ad3f, v212
	v_add_f32_e32 v209, v72, v209
	v_add_f32_e32 v216, v72, v216
	v_mul_f32_e32 v227, 0x3f116cb1, v212
	v_add_f32_e32 v215, v72, v215
	;; [unrolled: 3-line block ×6, first 2 shown]
	v_add_f32_e32 v205, v92, v78
	v_sub_f32_e32 v78, v92, v78
	v_mov_b32_e32 v214, v213
	v_mov_b32_e32 v232, v227
	;; [unrolled: 1-line block ×6, first 2 shown]
	v_mul_f32_e32 v92, 0xbf52af12, v78
	v_fmac_f32_e32 v214, 0x3eedf032, v79
	v_fmac_f32_e32 v213, 0xbeedf032, v79
	;; [unrolled: 1-line block ×12, first 2 shown]
	v_add_f32_e32 v79, v211, v77
	v_mov_b32_e32 v206, v92
	v_fmac_f32_e32 v206, 0x3f116cb1, v79
	v_sub_f32_e32 v77, v211, v77
	v_add_f32_e32 v206, v206, v210
	v_mul_f32_e32 v210, 0x3f116cb1, v205
	v_add_f32_e32 v213, v73, v213
	v_mov_b32_e32 v211, v210
	v_fma_f32 v92, v79, s5, -v92
	v_fmac_f32_e32 v210, 0xbf52af12, v77
	v_add_f32_e32 v92, v92, v209
	v_add_f32_e32 v209, v210, v213
	v_mul_f32_e32 v210, 0xbf6f5d39, v78
	v_add_f32_e32 v214, v73, v214
	v_add_f32_e32 v232, v73, v232
	;; [unrolled: 1-line block ×11, first 2 shown]
	v_mov_b32_e32 v212, v210
	v_fma_f32 v210, v79, s7, -v210
	v_fmac_f32_e32 v211, 0x3f52af12, v77
	v_fmac_f32_e32 v212, 0xbeb58ec6, v79
	v_mul_f32_e32 v213, 0xbeb58ec6, v205
	v_add_f32_e32 v210, v210, v215
	v_mul_f32_e32 v215, 0xbe750f2a, v78
	v_add_f32_e32 v211, v211, v214
	v_add_f32_e32 v212, v212, v216
	v_mov_b32_e32 v214, v213
	v_fmac_f32_e32 v213, 0xbf6f5d39, v77
	v_mov_b32_e32 v216, v215
	v_fma_f32 v215, v79, s13, -v215
	v_fmac_f32_e32 v214, 0x3f6f5d39, v77
	v_add_f32_e32 v213, v213, v227
	v_fmac_f32_e32 v216, 0xbf788fa5, v79
	v_mul_f32_e32 v227, 0xbf788fa5, v205
	v_add_f32_e32 v215, v215, v233
	v_mul_f32_e32 v233, 0x3f29c268, v78
	v_add_f32_e32 v214, v214, v232
	v_add_f32_e32 v216, v216, v234
	v_mov_b32_e32 v232, v227
	v_fmac_f32_e32 v227, 0xbe750f2a, v77
	v_mov_b32_e32 v234, v233
	v_fma_f32 v233, v79, s12, -v233
	v_fmac_f32_e32 v232, 0x3e750f2a, v77
	v_add_f32_e32 v227, v227, v235
	v_fmac_f32_e32 v234, 0xbf3f9e67, v79
	v_mul_f32_e32 v235, 0xbf3f9e67, v205
	v_add_f32_e32 v233, v233, v237
	v_mul_f32_e32 v237, 0x3f7e222b, v78
	v_add_f32_e32 v232, v232, v236
	v_add_f32_e32 v234, v234, v238
	v_mov_b32_e32 v236, v235
	v_fmac_f32_e32 v235, 0x3f29c268, v77
	v_mov_b32_e32 v238, v237
	v_fma_f32 v237, v79, s6, -v237
	v_mul_f32_e32 v78, 0x3eedf032, v78
	v_fmac_f32_e32 v236, 0xbf29c268, v77
	v_add_f32_e32 v235, v235, v239
	v_fmac_f32_e32 v238, 0x3df6dbef, v79
	v_mul_f32_e32 v239, 0x3df6dbef, v205
	v_add_f32_e32 v237, v237, v241
	v_mov_b32_e32 v241, v78
	v_mul_f32_e32 v205, 0x3f62ad3f, v205
	v_fma_f32 v78, v79, s4, -v78
	v_add_f32_e32 v236, v236, v240
	v_add_f32_e32 v238, v238, v242
	v_mov_b32_e32 v240, v239
	v_mov_b32_e32 v242, v205
	v_add_f32_e32 v72, v78, v72
	v_add_f32_e32 v78, v94, v76
	v_sub_f32_e32 v76, v94, v76
	v_fmac_f32_e32 v240, 0xbf7e222b, v77
	v_fmac_f32_e32 v239, 0x3f7e222b, v77
	;; [unrolled: 1-line block ×5, first 2 shown]
	v_add_f32_e32 v77, v93, v83
	v_sub_f32_e32 v79, v93, v83
	v_mul_f32_e32 v83, 0xbf7e222b, v76
	v_mul_f32_e32 v94, 0x3df6dbef, v78
	v_add_f32_e32 v73, v205, v73
	v_mov_b32_e32 v93, v83
	v_mov_b32_e32 v205, v94
	v_fma_f32 v83, v77, s6, -v83
	v_fmac_f32_e32 v94, 0xbf7e222b, v79
	v_fmac_f32_e32 v93, 0x3df6dbef, v77
	v_add_f32_e32 v83, v83, v92
	v_add_f32_e32 v92, v94, v209
	v_mul_f32_e32 v94, 0xbe750f2a, v76
	v_add_f32_e32 v93, v93, v206
	v_mov_b32_e32 v206, v94
	v_fma_f32 v94, v77, s13, -v94
	v_fmac_f32_e32 v205, 0x3f7e222b, v79
	v_fmac_f32_e32 v206, 0xbf788fa5, v77
	v_mul_f32_e32 v209, 0xbf788fa5, v78
	v_add_f32_e32 v94, v94, v210
	v_mul_f32_e32 v210, 0x3f6f5d39, v76
	v_add_f32_e32 v205, v205, v211
	v_add_f32_e32 v206, v206, v212
	v_mov_b32_e32 v211, v209
	v_fmac_f32_e32 v209, 0xbe750f2a, v79
	v_mov_b32_e32 v212, v210
	v_fma_f32 v210, v77, s7, -v210
	v_fmac_f32_e32 v211, 0x3e750f2a, v79
	v_add_f32_e32 v209, v209, v213
	v_fmac_f32_e32 v212, 0xbeb58ec6, v77
	v_mul_f32_e32 v213, 0xbeb58ec6, v78
	v_add_f32_e32 v210, v210, v215
	v_mul_f32_e32 v215, 0x3eedf032, v76
	v_add_f32_e32 v211, v211, v214
	v_add_f32_e32 v212, v212, v216
	v_mov_b32_e32 v214, v213
	v_fmac_f32_e32 v213, 0x3f6f5d39, v79
	v_mov_b32_e32 v216, v215
	v_fma_f32 v215, v77, s4, -v215
	v_fmac_f32_e32 v214, 0xbf6f5d39, v79
	v_add_f32_e32 v213, v213, v227
	v_fmac_f32_e32 v216, 0x3f62ad3f, v77
	v_mul_f32_e32 v227, 0x3f62ad3f, v78
	v_add_f32_e32 v215, v215, v233
	v_mul_f32_e32 v233, 0xbf52af12, v76
	v_add_f32_e32 v214, v214, v232
	v_add_f32_e32 v216, v216, v234
	v_mov_b32_e32 v232, v227
	v_fmac_f32_e32 v227, 0x3eedf032, v79
	v_mov_b32_e32 v234, v233
	v_fmac_f32_e32 v232, 0xbeedf032, v79
	v_add_f32_e32 v227, v227, v235
	v_fmac_f32_e32 v234, 0x3f116cb1, v77
	v_mul_f32_e32 v235, 0x3f116cb1, v78
	v_mul_f32_e32 v78, 0xbf3f9e67, v78
	v_add_f32_e32 v232, v232, v236
	v_add_f32_e32 v234, v234, v238
	v_mov_b32_e32 v236, v235
	v_fma_f32 v233, v77, s5, -v233
	v_mul_f32_e32 v76, 0xbf29c268, v76
	v_mov_b32_e32 v238, v78
	v_fmac_f32_e32 v236, 0x3f52af12, v79
	v_add_f32_e32 v233, v233, v237
	v_fmac_f32_e32 v235, 0xbf52af12, v79
	v_mov_b32_e32 v237, v76
	v_fmac_f32_e32 v238, 0x3f29c268, v79
	v_fma_f32 v76, v77, s12, -v76
	v_fmac_f32_e32 v78, 0xbf29c268, v79
	v_sub_f32_e32 v79, v88, v82
	v_add_f32_e32 v72, v76, v72
	v_add_f32_e32 v73, v78, v73
	v_add_f32_e32 v76, v95, v81
	v_sub_f32_e32 v78, v95, v81
	v_mul_f32_e32 v81, 0xbf6f5d39, v79
	v_fmac_f32_e32 v237, 0xbf3f9e67, v77
	v_add_f32_e32 v77, v88, v82
	v_mov_b32_e32 v82, v81
	v_fmac_f32_e32 v82, 0xbeb58ec6, v76
	v_mul_f32_e32 v88, 0xbeb58ec6, v77
	v_add_f32_e32 v82, v82, v93
	v_mov_b32_e32 v93, v88
	v_fma_f32 v81, v76, s7, -v81
	v_fmac_f32_e32 v88, 0xbf6f5d39, v78
	v_fmac_f32_e32 v93, 0x3f6f5d39, v78
	v_add_f32_e32 v81, v81, v83
	v_add_f32_e32 v83, v88, v92
	v_mul_f32_e32 v88, 0x3f29c268, v79
	v_mul_f32_e32 v95, 0xbf3f9e67, v77
	v_add_f32_e32 v93, v93, v205
	v_mov_b32_e32 v92, v88
	v_mov_b32_e32 v205, v95
	v_fma_f32 v88, v76, s12, -v88
	v_fmac_f32_e32 v95, 0x3f29c268, v78
	v_fmac_f32_e32 v92, 0xbf3f9e67, v76
	v_add_f32_e32 v88, v88, v94
	v_add_f32_e32 v94, v95, v209
	v_mul_f32_e32 v95, 0x3eedf032, v79
	v_add_f32_e32 v92, v92, v206
	v_mov_b32_e32 v206, v95
	v_fma_f32 v95, v76, s4, -v95
	v_fmac_f32_e32 v205, 0xbf29c268, v78
	v_fmac_f32_e32 v206, 0x3f62ad3f, v76
	v_mul_f32_e32 v209, 0x3f62ad3f, v77
	v_add_f32_e32 v95, v95, v210
	v_mul_f32_e32 v210, 0xbf7e222b, v79
	v_add_f32_e32 v205, v205, v211
	v_add_f32_e32 v206, v206, v212
	v_mov_b32_e32 v211, v209
	v_fmac_f32_e32 v209, 0x3eedf032, v78
	v_mov_b32_e32 v212, v210
	v_fma_f32 v210, v76, s6, -v210
	v_fmac_f32_e32 v211, 0xbeedf032, v78
	v_add_f32_e32 v209, v209, v213
	v_fmac_f32_e32 v212, 0x3df6dbef, v76
	v_mul_f32_e32 v213, 0x3df6dbef, v77
	v_add_f32_e32 v210, v210, v215
	v_mul_f32_e32 v215, 0x3e750f2a, v79
	v_add_f32_e32 v211, v211, v214
	v_add_f32_e32 v212, v212, v216
	v_mov_b32_e32 v214, v213
	v_fmac_f32_e32 v213, 0xbf7e222b, v78
	v_mov_b32_e32 v216, v215
	v_fma_f32 v215, v76, s13, -v215
	v_mul_f32_e32 v79, 0x3f52af12, v79
	v_add_f32_e32 v213, v213, v227
	v_fmac_f32_e32 v216, 0xbf788fa5, v76
	v_mul_f32_e32 v227, 0xbf788fa5, v77
	v_add_f32_e32 v215, v215, v233
	v_mov_b32_e32 v233, v79
	v_mul_f32_e32 v77, 0x3f116cb1, v77
	v_fmac_f32_e32 v214, 0x3f7e222b, v78
	v_add_f32_e32 v216, v216, v234
	v_fmac_f32_e32 v233, 0x3f116cb1, v76
	v_mov_b32_e32 v234, v77
	v_fma_f32 v76, v76, s5, -v79
	v_fmac_f32_e32 v77, 0x3f52af12, v78
	v_sub_f32_e32 v79, v90, v80
	v_add_f32_e32 v214, v214, v232
	v_mov_b32_e32 v232, v227
	v_add_f32_e32 v73, v77, v73
	v_add_f32_e32 v77, v90, v80
	v_mul_f32_e32 v80, 0xbf29c268, v79
	v_fmac_f32_e32 v232, 0xbe750f2a, v78
	v_fmac_f32_e32 v227, 0x3e750f2a, v78
	;; [unrolled: 1-line block ×3, first 2 shown]
	v_add_f32_e32 v72, v76, v72
	v_add_f32_e32 v76, v89, v87
	v_sub_f32_e32 v78, v89, v87
	v_mov_b32_e32 v87, v80
	v_fmac_f32_e32 v87, 0xbf3f9e67, v76
	v_add_f32_e32 v82, v87, v82
	v_mul_f32_e32 v87, 0xbf3f9e67, v77
	v_mov_b32_e32 v89, v87
	v_fma_f32 v80, v76, s12, -v80
	v_fmac_f32_e32 v87, 0xbf29c268, v78
	v_add_f32_e32 v80, v80, v81
	v_add_f32_e32 v81, v87, v83
	v_mul_f32_e32 v83, 0x3f7e222b, v79
	v_mov_b32_e32 v87, v83
	v_fmac_f32_e32 v87, 0x3df6dbef, v76
	v_mul_f32_e32 v90, 0x3df6dbef, v77
	v_add_f32_e32 v87, v87, v92
	v_mov_b32_e32 v92, v90
	v_fma_f32 v83, v76, s6, -v83
	v_fmac_f32_e32 v90, 0x3f7e222b, v78
	v_fmac_f32_e32 v89, 0x3f29c268, v78
	v_add_f32_e32 v83, v83, v88
	v_add_f32_e32 v88, v90, v94
	v_mul_f32_e32 v90, 0xbf52af12, v79
	v_add_f32_e32 v89, v89, v93
	v_mov_b32_e32 v93, v90
	v_fma_f32 v90, v76, s5, -v90
	v_fmac_f32_e32 v92, 0xbf7e222b, v78
	v_fmac_f32_e32 v93, 0x3f116cb1, v76
	v_mul_f32_e32 v94, 0x3f116cb1, v77
	v_add_f32_e32 v90, v90, v95
	v_mul_f32_e32 v95, 0x3e750f2a, v79
	v_add_f32_e32 v92, v92, v205
	v_add_f32_e32 v93, v93, v206
	v_mov_b32_e32 v205, v94
	v_fmac_f32_e32 v94, 0xbf52af12, v78
	v_mov_b32_e32 v206, v95
	v_fma_f32 v95, v76, s13, -v95
	v_fmac_f32_e32 v205, 0x3f52af12, v78
	v_add_f32_e32 v94, v94, v209
	v_fmac_f32_e32 v206, 0xbf788fa5, v76
	v_mul_f32_e32 v209, 0xbf788fa5, v77
	v_add_f32_e32 v95, v95, v210
	v_mul_f32_e32 v210, 0x3eedf032, v79
	v_add_f32_e32 v205, v205, v211
	v_add_f32_e32 v206, v206, v212
	v_mov_b32_e32 v211, v209
	v_fmac_f32_e32 v209, 0x3e750f2a, v78
	v_mov_b32_e32 v212, v210
	v_add_f32_e32 v242, v242, v246
	v_add_f32_e32 v209, v209, v213
	v_fmac_f32_e32 v212, 0x3f62ad3f, v76
	v_mul_f32_e32 v213, 0x3f62ad3f, v77
	v_mul_f32_e32 v77, 0xbeb58ec6, v77
	v_add_f32_e32 v240, v240, v244
	v_add_f32_e32 v238, v238, v242
	v_fmac_f32_e32 v211, 0xbe750f2a, v78
	v_add_f32_e32 v212, v212, v216
	v_mov_b32_e32 v216, v77
	v_add_f32_e32 v239, v239, v243
	v_add_f32_e32 v241, v241, v245
	;; [unrolled: 1-line block ×5, first 2 shown]
	v_mov_b32_e32 v214, v213
	v_fma_f32 v210, v76, s4, -v210
	v_mul_f32_e32 v79, 0xbf6f5d39, v79
	v_fmac_f32_e32 v216, 0x3f6f5d39, v78
	v_add_f32_e32 v235, v235, v239
	v_add_f32_e32 v237, v237, v241
	;; [unrolled: 1-line block ×3, first 2 shown]
	v_fmac_f32_e32 v214, 0xbeedf032, v78
	v_add_f32_e32 v210, v210, v215
	v_mov_b32_e32 v215, v79
	v_add_f32_e32 v216, v216, v234
	v_fmac_f32_e32 v77, 0xbf6f5d39, v78
	v_add_f32_e32 v234, v84, v86
	v_add_f32_e32 v227, v227, v235
	;; [unrolled: 1-line block ×4, first 2 shown]
	v_fmac_f32_e32 v213, 0x3eedf032, v78
	v_fmac_f32_e32 v215, 0xbeb58ec6, v76
	v_fma_f32 v76, v76, s7, -v79
	v_add_f32_e32 v232, v77, v73
	v_sub_f32_e32 v235, v91, v85
	v_sub_f32_e32 v236, v84, v86
	v_mul_f32_e32 v77, 0xbf788fa5, v234
	v_add_f32_e32 v213, v213, v227
	v_add_f32_e32 v215, v215, v233
	;; [unrolled: 1-line block ×4, first 2 shown]
	v_mul_f32_e32 v76, 0xbe750f2a, v236
	v_mov_b32_e32 v73, v77
	v_fmac_f32_e32 v77, 0xbe750f2a, v235
	v_mov_b32_e32 v72, v76
	v_fma_f32 v76, v233, s13, -v76
	v_add_f32_e32 v77, v77, v81
	v_mul_f32_e32 v81, 0x3f62ad3f, v234
	v_add_f32_e32 v76, v76, v80
	v_mul_f32_e32 v80, 0x3eedf032, v236
	v_mov_b32_e32 v79, v81
	v_fmac_f32_e32 v81, 0x3eedf032, v235
	v_fmac_f32_e32 v72, 0xbf788fa5, v233
	v_mov_b32_e32 v78, v80
	v_fma_f32 v80, v233, s4, -v80
	v_add_f32_e32 v81, v81, v88
	v_mul_f32_e32 v84, 0xbf29c268, v236
	v_mul_f32_e32 v85, 0xbf3f9e67, v234
	;; [unrolled: 1-line block ×3, first 2 shown]
	v_add_f32_e32 v72, v72, v82
	v_add_f32_e32 v80, v80, v83
	v_mov_b32_e32 v82, v84
	v_mov_b32_e32 v83, v85
	;; [unrolled: 1-line block ×3, first 2 shown]
	v_fmac_f32_e32 v73, 0x3e750f2a, v235
	v_fmac_f32_e32 v79, 0xbeedf032, v235
	;; [unrolled: 1-line block ×5, first 2 shown]
	v_add_f32_e32 v73, v73, v89
	v_fmac_f32_e32 v78, 0x3f62ad3f, v233
	v_add_f32_e32 v79, v79, v92
	v_add_f32_e32 v82, v82, v93
	v_add_f32_e32 v83, v83, v205
	v_fma_f32 v84, v233, s12, -v84
	v_fmac_f32_e32 v85, 0xbf29c268, v235
	v_add_f32_e32 v86, v86, v206
	v_mul_f32_e32 v89, 0x3f116cb1, v234
	v_fma_f32 v88, v233, s5, -v88
	v_mul_f32_e32 v92, 0xbf6f5d39, v236
	v_mul_f32_e32 v93, 0xbeb58ec6, v234
	;; [unrolled: 1-line block ×4, first 2 shown]
	v_add_f32_e32 v78, v78, v87
	v_add_f32_e32 v84, v84, v90
	;; [unrolled: 1-line block ×3, first 2 shown]
	v_mov_b32_e32 v87, v89
	v_add_f32_e32 v88, v88, v95
	v_mov_b32_e32 v90, v92
	v_mov_b32_e32 v91, v93
	;; [unrolled: 1-line block ×4, first 2 shown]
	v_fmac_f32_e32 v87, 0xbf52af12, v235
	v_fmac_f32_e32 v89, 0x3f52af12, v235
	;; [unrolled: 1-line block ×4, first 2 shown]
	v_fma_f32 v92, v233, s7, -v92
	v_fmac_f32_e32 v93, 0xbf6f5d39, v235
	v_fmac_f32_e32 v94, 0x3df6dbef, v233
	;; [unrolled: 1-line block ×3, first 2 shown]
	v_fma_f32 v205, v233, s6, -v205
	v_fmac_f32_e32 v206, 0x3f7e222b, v235
	v_add_f32_e32 v87, v87, v211
	v_add_f32_e32 v89, v89, v209
	;; [unrolled: 1-line block ×10, first 2 shown]
	s_waitcnt lgkmcnt(0)
	; wave barrier
	ds_write2_b64 v226, v[74:75], v[72:73] offset1:4
	ds_write2_b64 v226, v[78:79], v[82:83] offset0:8 offset1:12
	ds_write2_b64 v226, v[86:87], v[90:91] offset0:16 offset1:20
	;; [unrolled: 1-line block ×5, first 2 shown]
	ds_write_b64 v226, v[76:77] offset:384
	s_and_saveexec_b64 s[0:1], vcc
	s_cbranch_execz .LBB0_9
; %bb.8:
	v_mul_f32_e32 v73, v13, v55
	v_mul_f32_e32 v74, v23, v166
	v_fmac_f32_e32 v73, v12, v54
	v_fmac_f32_e32 v74, v22, v165
	v_sub_f32_e32 v72, v73, v74
	v_mul_f32_e32 v23, v23, v165
	v_mul_f32_e32 v13, v13, v54
	;; [unrolled: 1-line block ×3, first 2 shown]
	v_fma_f32 v22, v22, v166, -v23
	v_fma_f32 v23, v12, v55, -v13
	v_add_f32_e32 v54, v22, v23
	v_mov_b32_e32 v12, v75
	v_mul_f32_e32 v55, v15, v65
	v_mul_f32_e32 v76, v21, v27
	v_fmac_f32_e32 v12, 0xbeb58ec6, v54
	v_fmac_f32_e32 v55, v14, v64
	;; [unrolled: 1-line block ×3, first 2 shown]
	v_add_f32_e32 v13, v53, v12
	v_sub_f32_e32 v12, v55, v76
	v_mul_f32_e32 v21, v21, v26
	v_mul_f32_e32 v15, v15, v64
	;; [unrolled: 1-line block ×3, first 2 shown]
	v_fma_f32 v20, v20, v27, -v21
	v_fma_f32 v21, v14, v65, -v15
	v_mul_f32_e32 v26, v9, v67
	v_mul_f32_e32 v27, v19, v25
	v_add_f32_e32 v15, v20, v21
	v_mov_b32_e32 v14, v77
	v_fmac_f32_e32 v26, v8, v66
	v_fmac_f32_e32 v27, v18, v24
	v_fmac_f32_e32 v14, 0xbf3f9e67, v15
	v_sub_f32_e32 v64, v26, v27
	v_mul_f32_e32 v19, v19, v24
	v_mul_f32_e32 v9, v9, v66
	v_add_f32_e32 v13, v14, v13
	v_mul_f32_e32 v14, 0x3eedf032, v64
	v_fma_f32 v18, v18, v25, -v19
	v_fma_f32 v19, v8, v67, -v9
	v_add_f32_e32 v24, v18, v19
	v_mov_b32_e32 v8, v14
	v_mul_f32_e32 v25, v11, v61
	v_mul_f32_e32 v65, v17, v71
	v_fmac_f32_e32 v8, 0x3f62ad3f, v24
	v_fmac_f32_e32 v25, v10, v60
	;; [unrolled: 1-line block ×3, first 2 shown]
	v_add_f32_e32 v8, v8, v13
	v_sub_f32_e32 v66, v25, v65
	v_mul_f32_e32 v13, v17, v70
	v_mul_f32_e32 v11, v11, v60
	;; [unrolled: 1-line block ×3, first 2 shown]
	v_fma_f32 v17, v16, v71, -v13
	v_fma_f32 v60, v10, v61, -v11
	v_mul_f32_e32 v61, v1, v63
	v_mul_f32_e32 v67, v7, v69
	v_add_f32_e32 v16, v17, v60
	v_mov_b32_e32 v10, v9
	v_fmac_f32_e32 v61, v0, v62
	v_fmac_f32_e32 v67, v6, v68
	;; [unrolled: 1-line block ×3, first 2 shown]
	v_sub_f32_e32 v70, v61, v67
	v_mul_f32_e32 v7, v7, v68
	v_mul_f32_e32 v1, v1, v62
	v_add_f32_e32 v8, v10, v8
	v_mul_f32_e32 v10, 0x3e750f2a, v70
	v_fma_f32 v68, v6, v69, -v7
	v_fma_f32 v62, v0, v63, -v1
	v_mul_f32_e32 v69, v3, v57
	v_mul_f32_e32 v71, v5, v59
	v_add_f32_e32 v63, v68, v62
	v_mov_b32_e32 v0, v10
	v_fmac_f32_e32 v69, v2, v56
	v_fmac_f32_e32 v71, v4, v58
	v_mul_f32_e32 v1, v5, v58
	v_fmac_f32_e32 v0, 0xbf788fa5, v63
	v_sub_f32_e32 v78, v69, v71
	v_fma_f32 v58, v4, v59, -v1
	v_mul_f32_e32 v1, v3, v56
	v_add_f32_e32 v0, v0, v8
	v_mul_f32_e32 v8, 0x3f52af12, v78
	v_fma_f32 v56, v2, v57, -v1
	v_add_f32_e32 v57, v58, v56
	v_mov_b32_e32 v1, v8
	v_sub_f32_e32 v79, v23, v22
	v_fmac_f32_e32 v1, 0x3f116cb1, v57
	v_add_f32_e32 v59, v74, v73
	v_mul_f32_e32 v11, 0xbf6f5d39, v79
	v_sub_f32_e32 v81, v21, v20
	v_add_f32_e32 v1, v1, v0
	v_fma_f32 v0, v59, s7, -v11
	v_add_f32_e32 v80, v76, v55
	v_mul_f32_e32 v13, 0x3f29c268, v81
	v_sub_f32_e32 v83, v19, v18
	v_add_f32_e32 v0, v52, v0
	v_fma_f32 v2, v80, s12, -v13
	;; [unrolled: 5-line block ×5, first 2 shown]
	v_add_f32_e32 v91, v71, v69
	v_mul_f32_e32 v93, 0x3f52af12, v92
	v_add_f32_e32 v0, v2, v0
	v_fma_f32 v2, v91, s5, -v93
	v_mul_f32_e32 v4, 0xbe750f2a, v72
	v_add_f32_e32 v0, v2, v0
	v_mov_b32_e32 v2, v4
	v_mul_f32_e32 v5, 0x3eedf032, v12
	v_fmac_f32_e32 v2, 0xbf788fa5, v54
	v_mov_b32_e32 v3, v5
	v_add_f32_e32 v2, v53, v2
	v_fmac_f32_e32 v3, 0x3f62ad3f, v15
	v_mul_f32_e32 v6, 0xbf29c268, v64
	v_add_f32_e32 v2, v3, v2
	v_mov_b32_e32 v3, v6
	v_fmac_f32_e32 v3, 0xbf3f9e67, v24
	v_mul_f32_e32 v7, 0x3f52af12, v66
	v_add_f32_e32 v2, v3, v2
	v_mov_b32_e32 v3, v7
	v_fma_f32 v4, v54, s13, -v4
	v_fmac_f32_e32 v3, 0x3f116cb1, v16
	v_mul_f32_e32 v94, 0xbf6f5d39, v70
	v_add_f32_e32 v4, v53, v4
	v_fma_f32 v5, v15, s4, -v5
	v_add_f32_e32 v2, v3, v2
	v_mov_b32_e32 v3, v94
	v_add_f32_e32 v4, v5, v4
	v_fma_f32 v5, v24, s12, -v6
	v_fmac_f32_e32 v3, 0xbeb58ec6, v63
	v_mul_f32_e32 v95, 0x3f7e222b, v78
	v_add_f32_e32 v4, v5, v4
	v_fma_f32 v5, v16, s5, -v7
	v_add_f32_e32 v2, v3, v2
	v_mov_b32_e32 v3, v95
	v_add_f32_e32 v4, v5, v4
	v_fma_f32 v5, v63, s7, -v94
	v_mul_f32_e32 v94, 0xbf3f9e67, v54
	v_fmac_f32_e32 v3, 0x3df6dbef, v57
	v_mul_f32_e32 v165, 0xbe750f2a, v79
	v_add_f32_e32 v4, v5, v4
	v_fma_f32 v5, v57, s6, -v95
	v_mov_b32_e32 v6, v94
	v_mul_f32_e32 v95, 0x3df6dbef, v15
	v_add_f32_e32 v3, v3, v2
	v_fma_f32 v2, v59, s13, -v165
	v_mul_f32_e32 v166, 0x3eedf032, v81
	v_fmac_f32_e32 v165, 0xbf788fa5, v59
	v_fmac_f32_e32 v6, 0x3f29c268, v72
	v_mov_b32_e32 v7, v95
	v_add_f32_e32 v2, v52, v2
	v_fma_f32 v205, v80, s4, -v166
	v_add_f32_e32 v5, v5, v4
	v_add_f32_e32 v4, v52, v165
	;; [unrolled: 1-line block ×3, first 2 shown]
	v_fmac_f32_e32 v7, 0xbf7e222b, v12
	v_mul_f32_e32 v165, 0x3f116cb1, v24
	v_add_f32_e32 v2, v205, v2
	v_mul_f32_e32 v205, 0xbf29c268, v83
	v_fmac_f32_e32 v166, 0x3f62ad3f, v80
	v_add_f32_e32 v6, v7, v6
	v_mov_b32_e32 v7, v165
	v_fma_f32 v206, v82, s12, -v205
	v_add_f32_e32 v4, v166, v4
	v_fmac_f32_e32 v7, 0x3f52af12, v64
	v_mul_f32_e32 v166, 0xbf788fa5, v16
	v_add_f32_e32 v2, v206, v2
	v_mul_f32_e32 v206, 0x3f52af12, v86
	v_fmac_f32_e32 v205, 0xbf3f9e67, v82
	v_add_f32_e32 v6, v7, v6
	v_mov_b32_e32 v7, v166
	v_fma_f32 v209, v85, s5, -v206
	v_add_f32_e32 v4, v205, v4
	v_fmac_f32_e32 v7, 0xbe750f2a, v66
	v_mul_f32_e32 v205, 0x3f62ad3f, v63
	v_add_f32_e32 v2, v209, v2
	v_mul_f32_e32 v209, 0xbf6f5d39, v89
	v_fmac_f32_e32 v206, 0x3f116cb1, v85
	v_add_f32_e32 v6, v7, v6
	v_mov_b32_e32 v7, v205
	v_fma_f32 v210, v88, s7, -v209
	v_add_f32_e32 v4, v206, v4
	v_fmac_f32_e32 v7, 0xbeedf032, v70
	v_mul_f32_e32 v206, 0xbeb58ec6, v57
	v_add_f32_e32 v2, v210, v2
	v_mul_f32_e32 v210, 0x3f7e222b, v92
	v_fmac_f32_e32 v209, 0xbeb58ec6, v88
	v_add_f32_e32 v6, v7, v6
	v_mov_b32_e32 v7, v206
	v_fma_f32 v211, v91, s6, -v210
	v_add_f32_e32 v4, v209, v4
	v_fmac_f32_e32 v210, 0x3df6dbef, v91
	v_fmac_f32_e32 v7, 0x3f6f5d39, v78
	v_mul_f32_e32 v209, 0xbf29c268, v79
	v_fma_f32 v75, v54, s7, -v75
	v_add_f32_e32 v4, v210, v4
	v_add_f32_e32 v7, v7, v6
	v_mov_b32_e32 v6, v209
	v_mul_f32_e32 v210, 0x3f7e222b, v81
	v_add_f32_e32 v75, v53, v75
	v_fma_f32 v77, v15, s12, -v77
	v_add_f32_e32 v2, v211, v2
	v_fmac_f32_e32 v6, 0xbf3f9e67, v59
	v_mov_b32_e32 v211, v210
	v_add_f32_e32 v75, v77, v75
	v_fma_f32 v14, v24, s4, -v14
	v_add_f32_e32 v6, v52, v6
	v_fmac_f32_e32 v211, 0x3df6dbef, v80
	v_add_f32_e32 v14, v14, v75
	v_fma_f32 v9, v16, s6, -v9
	v_add_f32_e32 v6, v211, v6
	v_mul_f32_e32 v211, 0xbf52af12, v83
	v_add_f32_e32 v9, v9, v14
	v_fma_f32 v10, v63, s13, -v10
	v_mov_b32_e32 v212, v211
	v_add_f32_e32 v9, v10, v9
	v_fma_f32 v8, v57, s5, -v8
	v_fmac_f32_e32 v11, 0xbeb58ec6, v59
	v_mul_f32_e32 v75, 0x3df6dbef, v54
	v_fmac_f32_e32 v212, 0x3f116cb1, v82
	v_add_f32_e32 v9, v8, v9
	v_add_f32_e32 v8, v52, v11
	v_fmac_f32_e32 v13, 0xbf3f9e67, v80
	v_mov_b32_e32 v10, v75
	v_mul_f32_e32 v77, 0xbf788fa5, v15
	v_add_f32_e32 v6, v212, v6
	v_mul_f32_e32 v212, 0x3e750f2a, v86
	v_add_f32_e32 v8, v13, v8
	v_fmac_f32_e32 v84, 0x3f62ad3f, v82
	v_fmac_f32_e32 v10, 0x3f7e222b, v72
	v_mov_b32_e32 v11, v77
	v_mov_b32_e32 v213, v212
	v_add_f32_e32 v8, v84, v8
	v_add_f32_e32 v10, v53, v10
	v_fmac_f32_e32 v11, 0x3e750f2a, v12
	v_mul_f32_e32 v84, 0xbeb58ec6, v24
	v_fmac_f32_e32 v213, 0xbf788fa5, v85
	v_fmac_f32_e32 v87, 0x3df6dbef, v85
	v_add_f32_e32 v10, v11, v10
	v_mov_b32_e32 v11, v84
	v_add_f32_e32 v6, v213, v6
	v_mul_f32_e32 v213, 0x3eedf032, v89
	v_add_f32_e32 v8, v87, v8
	v_fmac_f32_e32 v11, 0xbf6f5d39, v64
	v_mul_f32_e32 v87, 0x3f62ad3f, v16
	v_mov_b32_e32 v214, v213
	v_fmac_f32_e32 v90, 0xbf788fa5, v88
	v_add_f32_e32 v10, v11, v10
	v_mov_b32_e32 v11, v87
	v_fmac_f32_e32 v214, 0x3f62ad3f, v88
	v_add_f32_e32 v8, v90, v8
	v_fmac_f32_e32 v11, 0xbeedf032, v66
	v_mul_f32_e32 v90, 0x3f116cb1, v63
	v_add_f32_e32 v6, v214, v6
	v_mul_f32_e32 v214, 0xbf6f5d39, v92
	v_fmac_f32_e32 v93, 0x3f116cb1, v91
	v_add_f32_e32 v10, v11, v10
	v_mov_b32_e32 v11, v90
	v_mov_b32_e32 v215, v214
	v_add_f32_e32 v8, v93, v8
	v_fmac_f32_e32 v11, 0x3f52af12, v70
	v_mul_f32_e32 v93, 0xbf3f9e67, v57
	v_fmac_f32_e32 v215, 0xbeb58ec6, v91
	v_add_f32_e32 v10, v11, v10
	v_mov_b32_e32 v11, v93
	v_add_f32_e32 v6, v215, v6
	v_fmac_f32_e32 v11, 0x3f29c268, v78
	v_mul_f32_e32 v215, 0xbf7e222b, v79
	v_add_f32_e32 v11, v11, v10
	v_mov_b32_e32 v10, v215
	v_mul_f32_e32 v216, 0xbe750f2a, v81
	v_fmac_f32_e32 v10, 0x3df6dbef, v59
	v_mov_b32_e32 v13, v216
	v_add_f32_e32 v10, v52, v10
	v_fmac_f32_e32 v13, 0xbf788fa5, v80
	v_mul_f32_e32 v226, 0x3f6f5d39, v83
	v_add_f32_e32 v10, v13, v10
	v_mov_b32_e32 v13, v226
	v_fmac_f32_e32 v13, 0xbeb58ec6, v82
	v_mul_f32_e32 v227, 0x3eedf032, v86
	v_add_f32_e32 v10, v13, v10
	v_mov_b32_e32 v13, v227
	;; [unrolled: 4-line block ×5, first 2 shown]
	v_mul_f32_e32 v235, 0xbeb58ec6, v15
	v_fmac_f32_e32 v13, 0x3f52af12, v72
	v_mov_b32_e32 v14, v235
	v_add_f32_e32 v13, v53, v13
	v_fmac_f32_e32 v14, 0x3f6f5d39, v12
	v_mul_f32_e32 v236, 0xbf788fa5, v24
	v_add_f32_e32 v13, v14, v13
	v_mov_b32_e32 v14, v236
	v_fmac_f32_e32 v14, 0x3e750f2a, v64
	v_mul_f32_e32 v237, 0xbf3f9e67, v16
	v_add_f32_e32 v13, v14, v13
	v_mov_b32_e32 v14, v237
	;; [unrolled: 4-line block ×5, first 2 shown]
	v_mul_f32_e32 v241, 0xbf6f5d39, v81
	v_fmac_f32_e32 v13, 0x3f116cb1, v59
	v_mov_b32_e32 v242, v241
	v_add_f32_e32 v13, v52, v13
	v_fmac_f32_e32 v242, 0xbeb58ec6, v80
	v_add_f32_e32 v23, v23, v53
	v_add_f32_e32 v13, v242, v13
	v_mul_f32_e32 v242, 0xbe750f2a, v83
	v_add_f32_e32 v21, v21, v23
	v_mov_b32_e32 v243, v242
	v_add_f32_e32 v19, v19, v21
	v_fmac_f32_e32 v243, 0xbf788fa5, v82
	v_add_f32_e32 v19, v60, v19
	v_add_f32_e32 v13, v243, v13
	v_mul_f32_e32 v243, 0x3f29c268, v86
	v_add_f32_e32 v19, v62, v19
	;; [unrolled: 7-line block ×3, first 2 shown]
	v_fmac_f32_e32 v94, 0xbf29c268, v72
	v_mov_b32_e32 v245, v244
	v_add_f32_e32 v17, v17, v19
	v_add_f32_e32 v19, v53, v94
	v_fmac_f32_e32 v95, 0x3f7e222b, v12
	v_fmac_f32_e32 v245, 0x3df6dbef, v88
	v_add_f32_e32 v19, v95, v19
	v_fmac_f32_e32 v165, 0xbf52af12, v64
	v_add_f32_e32 v13, v245, v13
	v_mul_f32_e32 v245, 0x3eedf032, v92
	v_add_f32_e32 v19, v165, v19
	v_fmac_f32_e32 v166, 0x3e750f2a, v66
	v_mov_b32_e32 v246, v245
	v_add_f32_e32 v19, v166, v19
	v_fmac_f32_e32 v205, 0x3eedf032, v70
	v_fmac_f32_e32 v246, 0x3f62ad3f, v91
	v_mul_f32_e32 v54, 0x3f62ad3f, v54
	v_add_f32_e32 v17, v18, v17
	v_add_f32_e32 v19, v205, v19
	v_fmac_f32_e32 v206, 0xbf6f5d39, v78
	v_add_f32_e32 v13, v246, v13
	v_mov_b32_e32 v246, v54
	v_mul_f32_e32 v247, 0x3f116cb1, v15
	v_add_f32_e32 v17, v20, v17
	v_add_f32_e32 v20, v206, v19
	v_fma_f32 v19, v59, s12, -v209
	v_fmac_f32_e32 v246, 0x3eedf032, v72
	v_mov_b32_e32 v15, v247
	v_add_f32_e32 v19, v52, v19
	v_fma_f32 v21, v80, s6, -v210
	v_add_f32_e32 v246, v53, v246
	v_fmac_f32_e32 v15, 0x3f52af12, v12
	v_add_f32_e32 v19, v21, v19
	v_fma_f32 v21, v82, s5, -v211
	v_add_f32_e32 v15, v15, v246
	v_mul_f32_e32 v246, 0x3df6dbef, v24
	v_add_f32_e32 v19, v21, v19
	v_fma_f32 v21, v85, s13, -v212
	v_mov_b32_e32 v24, v246
	v_mul_f32_e32 v248, 0xbeb58ec6, v16
	v_add_f32_e32 v19, v21, v19
	v_fma_f32 v21, v88, s4, -v213
	v_fmac_f32_e32 v24, 0x3f7e222b, v64
	v_mov_b32_e32 v16, v248
	v_add_f32_e32 v19, v21, v19
	v_fma_f32 v21, v91, s7, -v214
	v_fmac_f32_e32 v75, 0xbf7e222b, v72
	v_add_f32_e32 v15, v24, v15
	v_fmac_f32_e32 v16, 0x3f6f5d39, v66
	v_mul_f32_e32 v63, 0xbf3f9e67, v63
	v_add_f32_e32 v19, v21, v19
	v_add_f32_e32 v21, v53, v75
	v_fmac_f32_e32 v77, 0xbe750f2a, v12
	v_add_f32_e32 v15, v16, v15
	v_mov_b32_e32 v16, v63
	v_add_f32_e32 v21, v77, v21
	v_fmac_f32_e32 v84, 0x3f6f5d39, v64
	v_fmac_f32_e32 v16, 0x3f29c268, v70
	v_mul_f32_e32 v57, 0xbf788fa5, v57
	v_add_f32_e32 v21, v84, v21
	v_fmac_f32_e32 v87, 0x3eedf032, v66
	v_add_f32_e32 v15, v16, v15
	v_mov_b32_e32 v16, v57
	v_add_f32_e32 v21, v87, v21
	v_fmac_f32_e32 v90, 0xbf52af12, v70
	v_fmac_f32_e32 v16, 0x3e750f2a, v78
	v_mul_f32_e32 v79, 0xbeedf032, v79
	v_add_f32_e32 v21, v90, v21
	v_fmac_f32_e32 v93, 0xbf29c268, v78
	v_add_f32_e32 v16, v16, v15
	v_mov_b32_e32 v15, v79
	v_mul_f32_e32 v81, 0xbf52af12, v81
	v_add_f32_e32 v18, v22, v17
	v_add_f32_e32 v22, v93, v21
	v_fma_f32 v21, v59, s6, -v215
	v_fmac_f32_e32 v15, 0x3f62ad3f, v59
	v_mov_b32_e32 v24, v81
	v_add_f32_e32 v21, v52, v21
	v_fma_f32 v23, v80, s13, -v216
	v_add_f32_e32 v15, v52, v15
	v_fmac_f32_e32 v24, 0x3f116cb1, v80
	v_mul_f32_e32 v83, 0xbf7e222b, v83
	v_add_f32_e32 v21, v23, v21
	v_fma_f32 v23, v82, s7, -v226
	v_add_f32_e32 v15, v24, v15
	v_mov_b32_e32 v24, v83
	v_add_f32_e32 v21, v23, v21
	v_fma_f32 v23, v85, s4, -v227
	v_fmac_f32_e32 v24, 0x3df6dbef, v82
	v_mul_f32_e32 v86, 0xbf6f5d39, v86
	v_add_f32_e32 v21, v23, v21
	v_fma_f32 v23, v88, s5, -v232
	v_add_f32_e32 v15, v24, v15
	v_mov_b32_e32 v24, v86
	v_add_f32_e32 v21, v23, v21
	v_fma_f32 v23, v91, s12, -v233
	v_fmac_f32_e32 v234, 0xbf52af12, v72
	v_fmac_f32_e32 v24, 0xbeb58ec6, v85
	v_mul_f32_e32 v89, 0xbf29c268, v89
	v_add_f32_e32 v21, v23, v21
	v_add_f32_e32 v23, v53, v234
	v_fmac_f32_e32 v235, 0xbf6f5d39, v12
	v_add_f32_e32 v15, v24, v15
	v_mov_b32_e32 v24, v89
	v_add_f32_e32 v23, v235, v23
	v_fmac_f32_e32 v236, 0xbe750f2a, v64
	v_fmac_f32_e32 v24, 0xbf3f9e67, v88
	v_mul_f32_e32 v92, 0xbe750f2a, v92
	v_add_f32_e32 v23, v236, v23
	v_fmac_f32_e32 v237, 0x3f29c268, v66
	v_add_f32_e32 v15, v24, v15
	v_mov_b32_e32 v24, v92
	v_add_f32_e32 v17, v52, v73
	v_add_f32_e32 v23, v237, v23
	v_fmac_f32_e32 v238, 0x3f7e222b, v70
	v_fmac_f32_e32 v24, 0xbf788fa5, v91
	v_add_f32_e32 v17, v55, v17
	v_add_f32_e32 v23, v238, v23
	v_fmac_f32_e32 v239, 0x3eedf032, v78
	v_add_f32_e32 v15, v24, v15
	v_add_f32_e32 v17, v26, v17
	;; [unrolled: 1-line block ×3, first 2 shown]
	v_fma_f32 v23, v59, s5, -v240
	v_add_f32_e32 v17, v25, v17
	v_add_f32_e32 v23, v52, v23
	v_fma_f32 v25, v80, s7, -v241
	v_add_f32_e32 v23, v25, v23
	v_fma_f32 v25, v82, s13, -v242
	v_add_f32_e32 v23, v25, v23
	v_fma_f32 v25, v85, s12, -v243
	v_add_f32_e32 v23, v25, v23
	v_fma_f32 v25, v88, s6, -v244
	v_add_f32_e32 v23, v25, v23
	v_fma_f32 v25, v91, s4, -v245
	v_fmac_f32_e32 v54, 0xbeedf032, v72
	v_add_f32_e32 v23, v25, v23
	v_add_f32_e32 v25, v53, v54
	v_fmac_f32_e32 v247, 0xbf52af12, v12
	v_add_f32_e32 v12, v247, v25
	v_fmac_f32_e32 v246, 0xbf7e222b, v64
	;; [unrolled: 2-line block ×5, first 2 shown]
	v_add_f32_e32 v26, v57, v12
	v_fma_f32 v12, v59, s4, -v79
	v_add_f32_e32 v12, v52, v12
	v_fma_f32 v25, v80, s5, -v81
	;; [unrolled: 2-line block ×6, first 2 shown]
	v_add_f32_e32 v25, v25, v12
	buffer_load_dword v12, off, s[20:23], 0 ; 4-byte Folded Reload
	v_add_f32_e32 v17, v61, v17
	v_add_f32_e32 v17, v69, v17
	;; [unrolled: 1-line block ×8, first 2 shown]
	s_waitcnt vmcnt(0)
	v_mul_u32_u24_e32 v12, 52, v12
	v_or_b32_e32 v12, v12, v255
	v_lshlrev_b32_e32 v12, 3, v12
	ds_write2_b64 v12, v[17:18], v[15:16] offset1:4
	ds_write2_b64 v12, v[13:14], v[10:11] offset0:8 offset1:12
	ds_write2_b64 v12, v[8:9], v[6:7] offset0:16 offset1:20
	;; [unrolled: 1-line block ×5, first 2 shown]
	ds_write_b64 v12, v[25:26] offset:384
.LBB0_9:
	s_or_b64 exec, exec, s[0:1]
	v_add_u32_e32 v2, 0x1000, v207
	s_waitcnt lgkmcnt(0)
	; wave barrier
	s_waitcnt lgkmcnt(0)
	ds_read2_b64 v[8:11], v207 offset1:52
	ds_read2_b64 v[12:15], v2 offset0:112 offset1:164
	ds_read2_b64 v[16:19], v207 offset0:104 offset1:156
	v_add_u32_e32 v7, 0x1400, v207
	ds_read2_b64 v[20:23], v7 offset0:88 offset1:140
	v_add_u32_e32 v5, 0x1800, v207
	ds_read2_b64 v[52:55], v5 offset0:64 offset1:116
	s_waitcnt lgkmcnt(3)
	v_mul_f32_e32 v80, v146, v13
	v_fmac_f32_e32 v80, v145, v12
	v_mul_f32_e32 v12, v146, v12
	v_add_u32_e32 v6, 0x400, v207
	v_add_u32_e32 v4, 0x800, v207
	v_fma_f32 v13, v145, v13, -v12
	v_mul_f32_e32 v12, v146, v14
	ds_read2_b64 v[24:27], v6 offset0:80 offset1:132
	ds_read2_b64 v[56:59], v4 offset0:56 offset1:108
	;; [unrolled: 1-line block ×4, first 2 shown]
	v_mul_f32_e32 v81, v146, v15
	v_fma_f32 v15, v145, v15, -v12
	s_waitcnt lgkmcnt(5)
	v_mul_f32_e32 v12, v148, v20
	v_mul_f32_e32 v82, v148, v21
	v_fma_f32 v21, v147, v21, -v12
	v_mul_f32_e32 v12, v150, v22
	v_add_u32_e32 v3, 0x2000, v207
	v_mul_f32_e32 v83, v150, v23
	v_fma_f32 v23, v149, v23, -v12
	s_waitcnt lgkmcnt(4)
	v_mul_f32_e32 v12, v152, v52
	ds_read2_b64 v[68:71], v3 offset0:16 offset1:68
	ds_read2_b64 v[72:75], v2 offset0:8 offset1:60
	;; [unrolled: 1-line block ×3, first 2 shown]
	v_mul_f32_e32 v84, v152, v53
	v_fma_f32 v53, v151, v53, -v12
	v_mul_f32_e32 v12, v154, v54
	v_mul_f32_e32 v85, v154, v55
	v_fma_f32 v55, v153, v55, -v12
	s_waitcnt lgkmcnt(4)
	v_mul_f32_e32 v12, v156, v60
	v_mul_f32_e32 v86, v156, v61
	v_fma_f32 v61, v155, v61, -v12
	v_mul_f32_e32 v12, v158, v62
	v_mul_f32_e32 v87, v158, v63
	v_fma_f32 v63, v157, v63, -v12
	s_waitcnt lgkmcnt(2)
	v_mul_f32_e32 v12, v160, v68
	;; [unrolled: 7-line block ×3, first 2 shown]
	v_mul_f32_e32 v90, v164, v77
	v_fma_f32 v77, v163, v77, -v12
	v_mul_f32_e32 v12, v168, v78
	v_fmac_f32_e32 v81, v145, v14
	v_fmac_f32_e32 v82, v147, v20
	v_mul_f32_e32 v91, v168, v79
	v_fma_f32 v79, v167, v79, -v12
	v_sub_f32_e32 v12, v8, v80
	v_sub_f32_e32 v13, v9, v13
	v_fmac_f32_e32 v83, v149, v22
	v_fma_f32 v8, v8, 2.0, -v12
	v_fma_f32 v9, v9, 2.0, -v13
	v_sub_f32_e32 v14, v10, v81
	v_sub_f32_e32 v15, v11, v15
	;; [unrolled: 1-line block ×4, first 2 shown]
	v_fmac_f32_e32 v84, v151, v52
	v_fma_f32 v10, v10, 2.0, -v14
	v_fma_f32 v11, v11, 2.0, -v15
	;; [unrolled: 1-line block ×4, first 2 shown]
	v_sub_f32_e32 v22, v18, v83
	v_sub_f32_e32 v23, v19, v23
	s_waitcnt lgkmcnt(0)
	; wave barrier
	ds_write2_b64 v207, v[8:9], v[12:13] offset1:52
	ds_write2_b64 v207, v[10:11], v[14:15] offset0:104 offset1:156
	v_add_u32_e32 v8, 0x400, v253
	v_fmac_f32_e32 v85, v153, v54
	v_fma_f32 v18, v18, 2.0, -v22
	v_fma_f32 v19, v19, 2.0, -v23
	v_sub_f32_e32 v52, v24, v84
	v_sub_f32_e32 v53, v25, v53
	ds_write2_b64 v8, v[16:17], v[20:21] offset0:80 offset1:132
	v_add_u32_e32 v8, 0x800, v217
	v_fmac_f32_e32 v86, v155, v60
	v_fma_f32 v24, v24, 2.0, -v52
	v_fma_f32 v25, v25, 2.0, -v53
	v_sub_f32_e32 v54, v26, v85
	v_sub_f32_e32 v55, v27, v55
	;; [unrolled: 7-line block ×7, first 2 shown]
	ds_write2_b64 v8, v[64:65], v[68:69] offset0:64 offset1:116
	v_add_u32_e32 v8, 0x1800, v223
	v_fma_f32 v72, v72, 2.0, -v76
	v_fma_f32 v73, v73, 2.0, -v77
	v_sub_f32_e32 v78, v74, v91
	v_sub_f32_e32 v79, v75, v79
	ds_write2_b64 v8, v[66:67], v[70:71] offset0:168 offset1:220
	v_add_u32_e32 v8, 0x2000, v224
	v_fma_f32 v74, v74, 2.0, -v78
	v_fma_f32 v75, v75, 2.0, -v79
	ds_write2_b64 v8, v[72:73], v[76:77] offset0:16 offset1:68
	v_add_u32_e32 v8, 0x2000, v225
	ds_write2_b64 v8, v[74:75], v[78:79] offset0:120 offset1:172
	s_waitcnt lgkmcnt(0)
	; wave barrier
	s_waitcnt lgkmcnt(0)
	ds_read2_b64 v[8:11], v207 offset1:52
	ds_read2_b64 v[12:15], v4 offset0:160 offset1:212
	ds_read2_b64 v[16:19], v5 offset0:64 offset1:116
	;; [unrolled: 1-line block ×11, first 2 shown]
	s_waitcnt lgkmcnt(10)
	v_mul_f32_e32 v80, v29, v13
	v_fmac_f32_e32 v80, v28, v12
	v_mul_f32_e32 v12, v29, v12
	v_fma_f32 v81, v28, v13, -v12
	s_waitcnt lgkmcnt(9)
	v_mul_f32_e32 v82, v31, v17
	v_mul_f32_e32 v12, v31, v16
	v_fmac_f32_e32 v82, v30, v16
	v_fma_f32 v16, v30, v17, -v12
	v_mul_f32_e32 v12, v33, v14
	v_fma_f32 v84, v32, v15, -v12
	v_mul_f32_e32 v12, v35, v18
	v_mul_f32_e32 v85, v35, v19
	v_fma_f32 v19, v34, v19, -v12
	s_waitcnt lgkmcnt(7)
	v_mul_f32_e32 v86, v29, v25
	v_mul_f32_e32 v12, v29, v24
	v_fmac_f32_e32 v86, v28, v24
	v_fma_f32 v28, v28, v25, -v12
	s_waitcnt lgkmcnt(6)
	v_mul_f32_e32 v29, v31, v53
	v_mul_f32_e32 v12, v31, v52
	;; [unrolled: 1-line block ×3, first 2 shown]
	v_fmac_f32_e32 v29, v30, v52
	v_fma_f32 v30, v30, v53, -v12
	v_mul_f32_e32 v31, v33, v27
	v_mul_f32_e32 v12, v33, v26
	v_fmac_f32_e32 v83, v32, v14
	v_fmac_f32_e32 v31, v32, v26
	v_fma_f32 v32, v32, v27, -v12
	v_mul_f32_e32 v33, v35, v55
	v_mul_f32_e32 v12, v35, v54
	v_fmac_f32_e32 v85, v34, v18
	v_fmac_f32_e32 v33, v34, v54
	v_fma_f32 v34, v34, v55, -v12
	s_waitcnt lgkmcnt(4)
	v_mul_f32_e32 v12, v37, v60
	v_mul_f32_e32 v52, v37, v61
	v_fma_f32 v35, v36, v61, -v12
	s_waitcnt lgkmcnt(3)
	v_mul_f32_e32 v37, v39, v65
	v_mul_f32_e32 v12, v39, v64
	v_fmac_f32_e32 v37, v38, v64
	v_fma_f32 v38, v38, v65, -v12
	v_mul_f32_e32 v12, v41, v62
	v_mul_f32_e32 v53, v41, v63
	v_fma_f32 v41, v40, v63, -v12
	v_mul_f32_e32 v54, v43, v67
	v_mul_f32_e32 v12, v43, v66
	v_fmac_f32_e32 v54, v42, v66
	v_fma_f32 v42, v42, v67, -v12
	s_waitcnt lgkmcnt(1)
	v_mul_f32_e32 v12, v45, v72
	v_mul_f32_e32 v55, v45, v73
	v_fma_f32 v45, v44, v73, -v12
	s_waitcnt lgkmcnt(0)
	v_mul_f32_e32 v12, v47, v76
	v_fmac_f32_e32 v52, v36, v60
	v_mul_f32_e32 v60, v47, v77
	v_fma_f32 v47, v46, v77, -v12
	v_mul_f32_e32 v12, v49, v74
	v_fmac_f32_e32 v53, v40, v62
	v_fma_f32 v62, v48, v75, -v12
	v_mul_f32_e32 v12, v51, v78
	v_add_f32_e32 v13, v80, v82
	v_mul_f32_e32 v63, v51, v79
	v_fma_f32 v51, v50, v79, -v12
	v_add_f32_e32 v12, v8, v80
	v_fma_f32 v8, -0.5, v13, v8
	v_sub_f32_e32 v13, v81, v16
	v_mov_b32_e32 v14, v8
	v_add_f32_e32 v15, v81, v16
	v_fmac_f32_e32 v14, 0xbf5db3d7, v13
	v_fmac_f32_e32 v8, 0x3f5db3d7, v13
	v_add_f32_e32 v13, v9, v81
	v_fma_f32 v9, -0.5, v15, v9
	v_add_f32_e32 v13, v13, v16
	v_sub_f32_e32 v16, v80, v82
	v_mov_b32_e32 v15, v9
	v_add_f32_e32 v17, v83, v85
	v_fmac_f32_e32 v15, 0x3f5db3d7, v16
	v_fmac_f32_e32 v9, 0xbf5db3d7, v16
	v_add_f32_e32 v16, v10, v83
	v_fma_f32 v10, -0.5, v17, v10
	v_sub_f32_e32 v17, v84, v19
	v_mov_b32_e32 v18, v10
	v_fmac_f32_e32 v18, 0xbf5db3d7, v17
	v_fmac_f32_e32 v10, 0x3f5db3d7, v17
	v_add_f32_e32 v17, v11, v84
	v_add_f32_e32 v17, v17, v19
	v_add_f32_e32 v19, v84, v19
	v_fmac_f32_e32 v11, -0.5, v19
	v_sub_f32_e32 v24, v83, v85
	v_mov_b32_e32 v19, v11
	v_add_f32_e32 v25, v86, v29
	v_fmac_f32_e32 v19, 0x3f5db3d7, v24
	v_fmac_f32_e32 v11, 0xbf5db3d7, v24
	v_add_f32_e32 v24, v20, v86
	v_fma_f32 v20, -0.5, v25, v20
	v_sub_f32_e32 v25, v28, v30
	v_mov_b32_e32 v26, v20
	v_add_f32_e32 v27, v28, v30
	v_fmac_f32_e32 v26, 0xbf5db3d7, v25
	v_fmac_f32_e32 v20, 0x3f5db3d7, v25
	v_add_f32_e32 v25, v21, v28
	v_fma_f32 v21, -0.5, v27, v21
	v_add_f32_e32 v24, v24, v29
	v_sub_f32_e32 v28, v86, v29
	v_mov_b32_e32 v27, v21
	v_add_f32_e32 v29, v31, v33
	v_fmac_f32_e32 v27, 0x3f5db3d7, v28
	v_fmac_f32_e32 v21, 0xbf5db3d7, v28
	v_add_f32_e32 v28, v22, v31
	v_fma_f32 v22, -0.5, v29, v22
	v_add_f32_e32 v25, v25, v30
	v_sub_f32_e32 v29, v32, v34
	v_mov_b32_e32 v30, v22
	v_fmac_f32_e32 v30, 0xbf5db3d7, v29
	v_fmac_f32_e32 v22, 0x3f5db3d7, v29
	v_add_f32_e32 v29, v23, v32
	v_add_f32_e32 v32, v32, v34
	v_fmac_f32_e32 v55, v44, v72
	v_fmac_f32_e32 v60, v46, v76
	v_add_f32_e32 v28, v28, v33
	v_fmac_f32_e32 v23, -0.5, v32
	v_sub_f32_e32 v32, v31, v33
	v_add_f32_e32 v33, v52, v37
	v_add_f32_e32 v29, v29, v34
	v_fma_f32 v34, -0.5, v33, v56
	v_add_f32_e32 v43, v55, v60
	v_sub_f32_e32 v33, v35, v38
	v_mov_b32_e32 v36, v34
	v_fma_f32 v44, -0.5, v43, v68
	v_mov_b32_e32 v31, v23
	v_fmac_f32_e32 v36, 0xbf5db3d7, v33
	v_fmac_f32_e32 v34, 0x3f5db3d7, v33
	v_add_f32_e32 v33, v57, v35
	v_add_f32_e32 v35, v35, v38
	v_sub_f32_e32 v43, v45, v47
	v_mov_b32_e32 v46, v44
	v_mul_f32_e32 v61, v49, v75
	v_fmac_f32_e32 v31, 0x3f5db3d7, v32
	v_fmac_f32_e32 v23, 0xbf5db3d7, v32
	v_add_f32_e32 v32, v56, v52
	v_fma_f32 v35, -0.5, v35, v57
	v_fmac_f32_e32 v46, 0xbf5db3d7, v43
	v_fmac_f32_e32 v44, 0x3f5db3d7, v43
	v_add_f32_e32 v43, v69, v45
	v_add_f32_e32 v45, v45, v47
	v_fmac_f32_e32 v61, v48, v74
	v_fmac_f32_e32 v63, v50, v78
	v_add_f32_e32 v32, v32, v37
	v_add_f32_e32 v33, v33, v38
	v_sub_f32_e32 v38, v52, v37
	v_mov_b32_e32 v37, v35
	v_add_f32_e32 v39, v53, v54
	v_fma_f32 v45, -0.5, v45, v69
	v_fmac_f32_e32 v37, 0x3f5db3d7, v38
	v_fmac_f32_e32 v35, 0xbf5db3d7, v38
	v_add_f32_e32 v38, v58, v53
	v_fma_f32 v58, -0.5, v39, v58
	v_add_f32_e32 v43, v43, v47
	v_sub_f32_e32 v48, v55, v60
	v_mov_b32_e32 v47, v45
	v_add_f32_e32 v49, v61, v63
	v_sub_f32_e32 v39, v41, v42
	v_mov_b32_e32 v40, v58
	v_fmac_f32_e32 v47, 0x3f5db3d7, v48
	v_fmac_f32_e32 v45, 0xbf5db3d7, v48
	v_add_f32_e32 v48, v70, v61
	v_fma_f32 v70, -0.5, v49, v70
	v_fmac_f32_e32 v40, 0xbf5db3d7, v39
	v_fmac_f32_e32 v58, 0x3f5db3d7, v39
	v_add_f32_e32 v39, v59, v41
	v_add_f32_e32 v41, v41, v42
	v_sub_f32_e32 v49, v62, v51
	v_mov_b32_e32 v50, v70
	v_fmac_f32_e32 v59, -0.5, v41
	v_fmac_f32_e32 v50, 0xbf5db3d7, v49
	v_fmac_f32_e32 v70, 0x3f5db3d7, v49
	v_add_f32_e32 v49, v71, v62
	v_add_f32_e32 v12, v12, v82
	;; [unrolled: 1-line block ×4, first 2 shown]
	v_sub_f32_e32 v42, v53, v54
	v_mov_b32_e32 v41, v59
	v_add_f32_e32 v49, v49, v51
	v_add_f32_e32 v51, v62, v51
	s_waitcnt lgkmcnt(0)
	; wave barrier
	ds_write_b64 v207, v[14:15] offset:832
	ds_write_b64 v207, v[8:9] offset:1664
	ds_write2_b64 v207, v[12:13], v[16:17] offset1:52
	ds_write_b64 v207, v[18:19] offset:1248
	ds_write2_b64 v4, v[10:11], v[24:25] offset0:4 offset1:56
	ds_write2_b64 v4, v[28:29], v[26:27] offset0:108 offset1:160
	v_add_u32_e32 v56, 0xc00, v207
	v_add_u32_e32 v8, 0x1000, v228
	v_add_f32_e32 v38, v38, v54
	v_fmac_f32_e32 v41, 0x3f5db3d7, v42
	v_fmac_f32_e32 v59, 0xbf5db3d7, v42
	v_add_f32_e32 v42, v68, v55
	v_fmac_f32_e32 v71, -0.5, v51
	ds_write2_b64 v56, v[30:31], v[20:21] offset0:84 offset1:136
	ds_write_b64 v207, v[22:23] offset:4576
	ds_write2_b64 v8, v[32:33], v[36:37] offset0:112 offset1:216
	ds_write_b64 v228, v[34:35] offset:6656
	v_add_u32_e32 v8, 0x1000, v229
	v_add_f32_e32 v42, v42, v60
	v_sub_f32_e32 v52, v61, v63
	v_mov_b32_e32 v51, v71
	ds_write2_b64 v8, v[38:39], v[40:41] offset0:112 offset1:216
	ds_write_b64 v229, v[58:59] offset:6656
	v_add_u32_e32 v8, 0x1c00, v230
	v_add_f32_e32 v48, v48, v63
	v_fmac_f32_e32 v51, 0x3f5db3d7, v52
	ds_write2_b64 v8, v[42:43], v[46:47] offset0:40 offset1:144
	ds_write_b64 v230, v[44:45] offset:9152
	v_add_u32_e32 v8, 0x1c00, v231
	v_fmac_f32_e32 v71, 0xbf5db3d7, v52
	ds_write2_b64 v8, v[48:49], v[50:51] offset0:40 offset1:144
	ds_write_b64 v231, v[70:71] offset:9152
	s_waitcnt lgkmcnt(0)
	; wave barrier
	s_waitcnt lgkmcnt(0)
	ds_read2_b64 v[8:11], v207 offset1:52
	ds_read2_b64 v[12:15], v2 offset0:112 offset1:164
	ds_read2_b64 v[16:19], v207 offset0:104 offset1:156
	;; [unrolled: 1-line block ×11, first 2 shown]
	s_waitcnt lgkmcnt(10)
	v_mul_f32_e32 v57, v170, v13
	v_fmac_f32_e32 v57, v169, v12
	v_mul_f32_e32 v12, v170, v12
	v_fma_f32 v13, v169, v13, -v12
	v_mul_f32_e32 v12, v172, v14
	v_mul_f32_e32 v58, v172, v15
	v_fma_f32 v15, v171, v15, -v12
	s_waitcnt lgkmcnt(8)
	v_mul_f32_e32 v12, v174, v20
	v_mul_f32_e32 v59, v174, v21
	v_fma_f32 v21, v173, v21, -v12
	v_mul_f32_e32 v12, v176, v22
	v_mul_f32_e32 v60, v176, v23
	v_fma_f32 v23, v175, v23, -v12
	s_waitcnt lgkmcnt(6)
	v_mul_f32_e32 v12, v178, v28
	v_mul_f32_e32 v61, v178, v29
	v_fma_f32 v29, v177, v29, -v12
	v_mul_f32_e32 v12, v180, v30
	v_mul_f32_e32 v62, v180, v31
	v_fma_f32 v31, v179, v31, -v12
	s_waitcnt lgkmcnt(4)
	v_mul_f32_e32 v12, v170, v36
	v_mul_f32_e32 v63, v170, v37
	v_fma_f32 v37, v169, v37, -v12
	v_mul_f32_e32 v12, v172, v38
	v_mul_f32_e32 v64, v172, v39
	v_fma_f32 v39, v171, v39, -v12
	s_waitcnt lgkmcnt(2)
	v_mul_f32_e32 v12, v174, v44
	v_mul_f32_e32 v65, v174, v45
	v_fma_f32 v45, v173, v45, -v12
	v_mul_f32_e32 v12, v176, v46
	v_mul_f32_e32 v66, v176, v47
	v_fma_f32 v47, v175, v47, -v12
	s_waitcnt lgkmcnt(0)
	v_mul_f32_e32 v12, v178, v52
	v_mul_f32_e32 v67, v178, v53
	v_fma_f32 v53, v177, v53, -v12
	v_mul_f32_e32 v68, v180, v55
	v_mul_f32_e32 v12, v180, v54
	v_fmac_f32_e32 v58, v171, v14
	v_fmac_f32_e32 v59, v173, v20
	;; [unrolled: 1-line block ×11, first 2 shown]
	v_fma_f32 v55, v179, v55, -v12
	v_sub_f32_e32 v12, v8, v57
	v_sub_f32_e32 v13, v9, v13
	;; [unrolled: 1-line block ×24, first 2 shown]
	v_fma_f32 v8, v8, 2.0, -v12
	v_fma_f32 v9, v9, 2.0, -v13
	;; [unrolled: 1-line block ×24, first 2 shown]
	s_waitcnt lgkmcnt(0)
	; wave barrier
	ds_write_b64 v207, v[12:13] offset:2496
	ds_write2_b64 v207, v[8:9], v[10:11] offset1:52
	ds_write2_b64 v4, v[14:15], v[20:21] offset0:108 offset1:160
	ds_write2_b64 v207, v[16:17], v[18:19] offset0:104 offset1:156
	ds_write2_b64 v56, v[22:23], v[28:29] offset0:84 offset1:136
	ds_write2_b64 v6, v[24:25], v[26:27] offset0:80 offset1:132
	ds_write2_b64 v2, v[30:31], v[32:33] offset0:60 offset1:112
	ds_write2_b64 v2, v[34:35], v[40:41] offset0:164 offset1:216
	v_add_u32_e32 v56, 0x1c00, v207
	ds_write2_b64 v56, v[38:39], v[44:45] offset0:92 offset1:144
	ds_write2_b64 v5, v[42:43], v[48:49] offset0:12 offset1:64
	ds_write2_b64 v3, v[46:47], v[52:53] offset0:68 offset1:120
	ds_write2_b64 v5, v[50:51], v[36:37] offset0:116 offset1:168
	ds_write_b64 v207, v[54:55] offset:9568
	s_waitcnt lgkmcnt(0)
	; wave barrier
	s_waitcnt lgkmcnt(0)
	ds_read2_b64 v[8:11], v207 offset1:52
	ds_read2_b64 v[12:15], v2 offset0:112 offset1:164
	ds_read2_b64 v[16:19], v207 offset0:104 offset1:156
	;; [unrolled: 1-line block ×11, first 2 shown]
	s_waitcnt lgkmcnt(10)
	v_mul_f32_e32 v57, v182, v13
	v_fmac_f32_e32 v57, v181, v12
	v_mul_f32_e32 v12, v182, v12
	v_fma_f32 v13, v181, v13, -v12
	v_mul_f32_e32 v12, v184, v14
	v_mul_f32_e32 v58, v184, v15
	v_fma_f32 v15, v183, v15, -v12
	s_waitcnt lgkmcnt(8)
	v_mul_f32_e32 v12, v186, v20
	v_mul_f32_e32 v59, v186, v21
	v_fma_f32 v21, v185, v21, -v12
	v_mul_f32_e32 v12, v188, v22
	v_mul_f32_e32 v60, v188, v23
	v_fma_f32 v23, v187, v23, -v12
	s_waitcnt lgkmcnt(6)
	v_mul_f32_e32 v12, v190, v28
	;; [unrolled: 7-line block ×5, first 2 shown]
	v_fmac_f32_e32 v58, v183, v14
	v_mul_f32_e32 v67, v202, v53
	v_fma_f32 v53, v201, v53, -v12
	v_mul_f32_e32 v68, v204, v55
	v_mul_f32_e32 v12, v204, v54
	v_fmac_f32_e32 v59, v185, v20
	v_fmac_f32_e32 v60, v187, v22
	;; [unrolled: 1-line block ×10, first 2 shown]
	v_fma_f32 v55, v203, v55, -v12
	v_sub_f32_e32 v12, v8, v57
	v_sub_f32_e32 v13, v9, v13
	;; [unrolled: 1-line block ×4, first 2 shown]
	v_fma_f32 v8, v8, 2.0, -v12
	v_fma_f32 v9, v9, 2.0, -v13
	;; [unrolled: 1-line block ×4, first 2 shown]
	v_sub_f32_e32 v20, v16, v59
	v_sub_f32_e32 v21, v17, v21
	v_sub_f32_e32 v22, v18, v60
	v_sub_f32_e32 v23, v19, v23
	v_sub_f32_e32 v28, v24, v61
	v_sub_f32_e32 v29, v25, v29
	v_sub_f32_e32 v30, v26, v62
	v_sub_f32_e32 v31, v27, v31
	v_sub_f32_e32 v36, v32, v63
	v_sub_f32_e32 v37, v33, v37
	v_sub_f32_e32 v38, v34, v64
	v_sub_f32_e32 v39, v35, v39
	v_sub_f32_e32 v44, v40, v65
	v_sub_f32_e32 v45, v41, v45
	v_sub_f32_e32 v46, v42, v66
	v_sub_f32_e32 v47, v43, v47
	v_sub_f32_e32 v52, v48, v67
	v_sub_f32_e32 v53, v49, v53
	v_sub_f32_e32 v54, v50, v68
	v_sub_f32_e32 v55, v51, v55
	v_fma_f32 v16, v16, 2.0, -v20
	v_fma_f32 v17, v17, 2.0, -v21
	v_fma_f32 v18, v18, 2.0, -v22
	v_fma_f32 v19, v19, 2.0, -v23
	v_fma_f32 v24, v24, 2.0, -v28
	v_fma_f32 v25, v25, 2.0, -v29
	v_fma_f32 v26, v26, 2.0, -v30
	v_fma_f32 v27, v27, 2.0, -v31
	v_fma_f32 v32, v32, 2.0, -v36
	v_fma_f32 v33, v33, 2.0, -v37
	v_fma_f32 v34, v34, 2.0, -v38
	v_fma_f32 v35, v35, 2.0, -v39
	v_fma_f32 v40, v40, 2.0, -v44
	v_fma_f32 v41, v41, 2.0, -v45
	v_fma_f32 v42, v42, 2.0, -v46
	v_fma_f32 v43, v43, 2.0, -v47
	v_fma_f32 v48, v48, 2.0, -v52
	v_fma_f32 v49, v49, 2.0, -v53
	v_fma_f32 v50, v50, 2.0, -v54
	v_fma_f32 v51, v51, 2.0, -v55
	ds_write_b64 v207, v[12:13] offset:4992
	ds_write2_b64 v207, v[8:9], v[10:11] offset1:52
	ds_write2_b64 v2, v[14:15], v[20:21] offset0:164 offset1:216
	ds_write2_b64 v207, v[16:17], v[18:19] offset0:104 offset1:156
	;; [unrolled: 1-line block ×10, first 2 shown]
	ds_write_b64 v207, v[54:55] offset:9568
	s_waitcnt lgkmcnt(0)
	; wave barrier
	s_waitcnt lgkmcnt(0)
	ds_read2_b64 v[8:11], v207 offset1:52
	v_mad_u64_u32 v[0:1], s[0:1], s10, v108, 0
	v_mad_u64_u32 v[16:17], s[4:5], s8, v208, 0
	;; [unrolled: 1-line block ×3, first 2 shown]
	s_waitcnt lgkmcnt(0)
	v_mul_f32_e32 v1, v122, v9
	v_fmac_f32_e32 v1, v121, v8
	v_cvt_f64_f32_e32 v[13:14], v1
	s_mov_b32 s0, 0x1a41a41a
	s_mov_b32 s1, 0x3f4a41a4
	v_mul_f32_e32 v1, v122, v8
	v_mul_f64 v[13:14], v[13:14], s[0:1]
	v_fma_f32 v1, v121, v9, -v1
	v_cvt_f64_f32_e32 v[8:9], v1
	v_mov_b32_e32 v1, v12
	v_mov_b32_e32 v12, v17
	v_lshlrev_b64 v[0:1], 3, v[0:1]
	v_mul_f64 v[8:9], v[8:9], s[0:1]
	v_mov_b32_e32 v20, s3
	v_mad_u64_u32 v[17:18], s[4:5], s9, v208, v[12:13]
	v_cvt_f32_f64_e32 v18, v[13:14]
	ds_read2_b64 v[12:15], v2 offset0:112 offset1:164
	v_add_co_u32_e32 v21, vcc, s2, v0
	v_cvt_f32_f64_e32 v19, v[8:9]
	v_addc_co_u32_e32 v20, vcc, v20, v1, vcc
	s_waitcnt lgkmcnt(0)
	v_mul_f32_e32 v8, v120, v13
	v_fmac_f32_e32 v8, v119, v12
	v_mul_f32_e32 v12, v120, v12
	v_fma_f32 v12, v119, v13, -v12
	v_cvt_f64_f32_e32 v[8:9], v8
	v_cvt_f64_f32_e32 v[12:13], v12
	s_mul_i32 s2, s9, 0x1380
	s_mul_hi_u32 s3, s8, 0x1380
	v_mul_f64 v[0:1], v[8:9], s[0:1]
	v_mul_f64 v[8:9], v[12:13], s[0:1]
	v_lshlrev_b64 v[12:13], 3, v[16:17]
	s_add_i32 s2, s3, s2
	v_add_co_u32_e32 v12, vcc, v21, v12
	v_addc_co_u32_e32 v13, vcc, v20, v13, vcc
	v_cvt_f32_f64_e32 v0, v[0:1]
	v_cvt_f32_f64_e32 v1, v[8:9]
	v_mul_f32_e32 v8, v116, v11
	v_fmac_f32_e32 v8, v115, v10
	v_cvt_f64_f32_e32 v[8:9], v8
	v_mul_f32_e32 v10, v116, v10
	v_fma_f32 v10, v115, v11, -v10
	v_cvt_f64_f32_e32 v[10:11], v10
	v_mul_f64 v[8:9], v[8:9], s[0:1]
	s_mul_i32 s3, s8, 0x1380
	global_store_dwordx2 v[12:13], v[18:19], off
	v_mov_b32_e32 v16, s2
	v_add_co_u32_e32 v12, vcc, s3, v12
	v_addc_co_u32_e32 v13, vcc, v13, v16, vcc
	v_mul_f64 v[10:11], v[10:11], s[0:1]
	global_store_dwordx2 v[12:13], v[0:1], off
	v_cvt_f32_f64_e32 v0, v[8:9]
	v_mul_f32_e32 v8, v112, v15
	v_fmac_f32_e32 v8, v111, v14
	v_cvt_f64_f32_e32 v[8:9], v8
	s_mul_hi_u32 s5, s8, 0xffffee20
	s_mul_i32 s4, s9, 0xffffee20
	v_cvt_f32_f64_e32 v1, v[10:11]
	v_mul_f64 v[16:17], v[8:9], s[0:1]
	v_mul_f32_e32 v8, v112, v14
	v_fma_f32 v8, v111, v15, -v8
	s_sub_i32 s5, s5, s8
	v_cvt_f64_f32_e32 v[14:15], v8
	s_add_i32 s4, s5, s4
	s_mul_i32 s5, s8, 0xffffee20
	ds_read2_b64 v[8:11], v207 offset0:104 offset1:156
	v_mov_b32_e32 v19, s4
	v_add_co_u32_e32 v18, vcc, s5, v12
	v_addc_co_u32_e32 v19, vcc, v13, v19, vcc
	global_store_dwordx2 v[18:19], v[0:1], off
	v_mul_f64 v[0:1], v[14:15], s[0:1]
	s_waitcnt lgkmcnt(0)
	v_mul_f32_e32 v12, v110, v9
	v_fmac_f32_e32 v12, v109, v8
	v_cvt_f64_f32_e32 v[12:13], v12
	v_mul_f32_e32 v8, v110, v8
	v_fma_f32 v8, v109, v9, -v8
	v_cvt_f64_f32_e32 v[8:9], v8
	v_cvt_f32_f64_e32 v16, v[16:17]
	v_cvt_f32_f64_e32 v17, v[0:1]
	v_mul_f64 v[0:1], v[12:13], s[0:1]
	ds_read2_b64 v[12:15], v7 offset0:88 offset1:140
	v_mul_f64 v[8:9], v[8:9], s[0:1]
	v_mov_b32_e32 v22, s2
	v_add_co_u32_e32 v18, vcc, s3, v18
	s_waitcnt lgkmcnt(0)
	v_mul_f32_e32 v7, v107, v13
	v_addc_co_u32_e32 v19, vcc, v19, v22, vcc
	v_fmac_f32_e32 v7, v106, v12
	global_store_dwordx2 v[18:19], v[16:17], off
	v_cvt_f64_f32_e32 v[16:17], v7
	v_mul_f32_e32 v12, v107, v12
	v_fma_f32 v12, v106, v13, -v12
	v_cvt_f32_f64_e32 v0, v[0:1]
	v_cvt_f32_f64_e32 v1, v[8:9]
	v_mul_f64 v[7:8], v[16:17], s[0:1]
	v_cvt_f64_f32_e32 v[12:13], v12
	v_mov_b32_e32 v9, s4
	v_add_co_u32_e32 v16, vcc, s5, v18
	v_addc_co_u32_e32 v17, vcc, v19, v9, vcc
	global_store_dwordx2 v[16:17], v[0:1], off
	v_mul_f64 v[0:1], v[12:13], s[0:1]
	v_cvt_f32_f64_e32 v7, v[7:8]
	v_mul_f32_e32 v8, v105, v11
	v_fmac_f32_e32 v8, v104, v10
	v_cvt_f64_f32_e32 v[12:13], v8
	v_mul_f32_e32 v8, v105, v10
	v_fma_f32 v8, v104, v11, -v8
	v_cvt_f64_f32_e32 v[9:10], v8
	v_cvt_f32_f64_e32 v8, v[0:1]
	v_mov_b32_e32 v18, s2
	v_add_co_u32_e32 v11, vcc, s3, v16
	v_mul_f64 v[0:1], v[12:13], s[0:1]
	v_addc_co_u32_e32 v12, vcc, v17, v18, vcc
	v_mul_f64 v[9:10], v[9:10], s[0:1]
	global_store_dwordx2 v[11:12], v[7:8], off
	v_mul_f32_e32 v7, v142, v15
	v_fmac_f32_e32 v7, v141, v14
	v_cvt_f64_f32_e32 v[7:8], v7
	v_cvt_f32_f64_e32 v0, v[0:1]
	v_add_co_u32_e32 v18, vcc, s5, v11
	v_mul_f64 v[16:17], v[7:8], s[0:1]
	v_mul_f32_e32 v7, v142, v14
	v_fma_f32 v7, v141, v15, -v7
	v_cvt_f32_f64_e32 v1, v[9:10]
	v_cvt_f64_f32_e32 v[13:14], v7
	ds_read2_b64 v[6:9], v6 offset0:80 offset1:132
	v_mov_b32_e32 v10, s4
	v_addc_co_u32_e32 v19, vcc, v12, v10, vcc
	global_store_dwordx2 v[18:19], v[0:1], off
	v_mul_f64 v[0:1], v[13:14], s[0:1]
	s_waitcnt lgkmcnt(0)
	v_mul_f32_e32 v10, v144, v7
	v_fmac_f32_e32 v10, v143, v6
	v_cvt_f64_f32_e32 v[10:11], v10
	v_mul_f32_e32 v6, v144, v6
	v_fma_f32 v6, v143, v7, -v6
	v_cvt_f64_f32_e32 v[6:7], v6
	v_cvt_f32_f64_e32 v14, v[16:17]
	v_cvt_f32_f64_e32 v15, v[0:1]
	v_mul_f64 v[0:1], v[10:11], s[0:1]
	ds_read2_b64 v[10:13], v5 offset0:64 offset1:116
	v_mov_b32_e32 v17, s2
	v_mul_f64 v[6:7], v[6:7], s[0:1]
	v_add_co_u32_e32 v16, vcc, s3, v18
	v_addc_co_u32_e32 v17, vcc, v19, v17, vcc
	global_store_dwordx2 v[16:17], v[14:15], off
	s_waitcnt lgkmcnt(0)
	v_mul_f32_e32 v14, v140, v11
	v_fmac_f32_e32 v14, v139, v10
	v_cvt_f64_f32_e32 v[14:15], v14
	v_cvt_f32_f64_e32 v0, v[0:1]
	v_cvt_f32_f64_e32 v1, v[6:7]
	v_mul_f32_e32 v10, v140, v10
	v_mul_f64 v[6:7], v[14:15], s[0:1]
	v_fma_f32 v10, v139, v11, -v10
	v_mov_b32_e32 v18, s4
	v_add_co_u32_e32 v14, vcc, s5, v16
	v_cvt_f64_f32_e32 v[10:11], v10
	v_addc_co_u32_e32 v15, vcc, v17, v18, vcc
	v_mad_u64_u32 v[16:17], s[6:7], s8, v254, 0
	global_store_dwordx2 v[14:15], v[0:1], off
	v_cvt_f32_f64_e32 v0, v[6:7]
	v_mul_f64 v[6:7], v[10:11], s[0:1]
	v_mov_b32_e32 v1, v17
	v_mad_u64_u32 v[10:11], s[6:7], s9, v254, v[1:2]
	v_mul_f32_e32 v1, v138, v9
	v_fmac_f32_e32 v1, v137, v8
	v_cvt_f64_f32_e32 v[18:19], v1
	v_mul_f32_e32 v1, v138, v8
	v_fma_f32 v1, v137, v9, -v1
	v_cvt_f64_f32_e32 v[8:9], v1
	v_cvt_f32_f64_e32 v1, v[6:7]
	v_mul_f64 v[6:7], v[18:19], s[0:1]
	v_mov_b32_e32 v17, v10
	v_mul_f64 v[8:9], v[8:9], s[0:1]
	v_lshlrev_b64 v[10:11], 3, v[16:17]
	v_mov_b32_e32 v18, s2
	v_add_co_u32_e32 v10, vcc, v21, v10
	v_addc_co_u32_e32 v11, vcc, v20, v11, vcc
	global_store_dwordx2 v[10:11], v[0:1], off
	v_cvt_f32_f64_e32 v0, v[6:7]
	v_mul_f32_e32 v6, v134, v13
	v_fmac_f32_e32 v6, v133, v12
	v_cvt_f64_f32_e32 v[6:7], v6
	v_cvt_f32_f64_e32 v1, v[8:9]
	v_mul_f32_e32 v9, v134, v12
	v_mov_b32_e32 v8, 0x1a0
	v_fma_f32 v9, v133, v13, -v9
	v_cvt_f64_f32_e32 v[10:11], v9
	v_mad_u64_u32 v[14:15], s[6:7], s8, v8, v[14:15]
	v_mul_f64 v[12:13], v[6:7], s[0:1]
	ds_read2_b64 v[6:9], v4 offset0:56 offset1:108
	s_mul_i32 s6, s9, 0x1a0
	v_add_u32_e32 v15, s6, v15
	global_store_dwordx2 v[14:15], v[0:1], off
	v_mul_f64 v[10:11], v[10:11], s[0:1]
	s_waitcnt lgkmcnt(0)
	v_mul_f32_e32 v0, v136, v7
	v_fmac_f32_e32 v0, v135, v6
	v_cvt_f64_f32_e32 v[0:1], v0
	v_mul_f32_e32 v6, v136, v6
	v_fma_f32 v6, v135, v7, -v6
	v_cvt_f64_f32_e32 v[6:7], v6
	v_mul_f64 v[0:1], v[0:1], s[0:1]
	v_cvt_f32_f64_e32 v16, v[12:13]
	v_cvt_f32_f64_e32 v17, v[10:11]
	ds_read2_b64 v[10:13], v5 offset0:168 offset1:220
	v_mul_f64 v[5:6], v[6:7], s[0:1]
	v_add_co_u32_e32 v14, vcc, s3, v14
	v_addc_co_u32_e32 v15, vcc, v15, v18, vcc
	v_cvt_f32_f64_e32 v0, v[0:1]
	s_waitcnt lgkmcnt(0)
	v_mul_f32_e32 v1, v126, v11
	v_fmac_f32_e32 v1, v125, v10
	global_store_dwordx2 v[14:15], v[16:17], off
	v_cvt_f64_f32_e32 v[16:17], v1
	v_mul_f32_e32 v1, v126, v10
	v_fma_f32 v1, v125, v11, -v1
	v_cvt_f64_f32_e32 v[10:11], v1
	v_cvt_f32_f64_e32 v1, v[5:6]
	v_mov_b32_e32 v7, s4
	v_add_co_u32_e32 v14, vcc, s5, v14
	v_addc_co_u32_e32 v15, vcc, v15, v7, vcc
	v_mul_f64 v[5:6], v[16:17], s[0:1]
	v_mul_f64 v[10:11], v[10:11], s[0:1]
	global_store_dwordx2 v[14:15], v[0:1], off
	v_mul_f32_e32 v0, v128, v9
	v_fmac_f32_e32 v0, v127, v8
	v_cvt_f64_f32_e32 v[0:1], v0
	v_mul_f32_e32 v7, v128, v8
	v_fma_f32 v7, v127, v9, -v7
	v_cvt_f32_f64_e32 v5, v[5:6]
	v_mul_f64 v[0:1], v[0:1], s[0:1]
	v_cvt_f32_f64_e32 v6, v[10:11]
	v_cvt_f64_f32_e32 v[7:8], v7
	v_mov_b32_e32 v10, s2
	v_add_co_u32_e32 v9, vcc, s3, v14
	v_addc_co_u32_e32 v10, vcc, v15, v10, vcc
	global_store_dwordx2 v[9:10], v[5:6], off
	v_mul_f64 v[5:6], v[7:8], s[0:1]
	v_cvt_f32_f64_e32 v0, v[0:1]
	v_mul_f32_e32 v1, v132, v13
	v_fmac_f32_e32 v1, v131, v12
	v_cvt_f64_f32_e32 v[7:8], v1
	v_mul_f32_e32 v1, v132, v12
	v_fma_f32 v1, v131, v13, -v1
	v_cvt_f64_f32_e32 v[11:12], v1
	v_cvt_f32_f64_e32 v1, v[5:6]
	v_mul_f64 v[13:14], v[7:8], s[0:1]
	ds_read2_b64 v[4:7], v4 offset0:160 offset1:212
	v_mov_b32_e32 v16, s4
	v_add_co_u32_e32 v15, vcc, s5, v9
	v_addc_co_u32_e32 v16, vcc, v10, v16, vcc
	global_store_dwordx2 v[15:16], v[0:1], off
	s_waitcnt lgkmcnt(0)
	v_mul_f32_e32 v0, v130, v5
	v_mul_f64 v[11:12], v[11:12], s[0:1]
	v_fmac_f32_e32 v0, v129, v4
	v_cvt_f64_f32_e32 v[0:1], v0
	v_mul_f32_e32 v4, v130, v4
	v_fma_f32 v4, v129, v5, -v4
	v_cvt_f64_f32_e32 v[4:5], v4
	v_mul_f64 v[0:1], v[0:1], s[0:1]
	v_cvt_f32_f64_e32 v13, v[13:14]
	v_cvt_f32_f64_e32 v14, v[11:12]
	ds_read2_b64 v[8:11], v3 offset0:16 offset1:68
	v_mul_f64 v[4:5], v[4:5], s[0:1]
	v_mov_b32_e32 v12, s2
	v_add_co_u32_e32 v15, vcc, s3, v15
	v_cvt_f32_f64_e32 v0, v[0:1]
	s_waitcnt lgkmcnt(0)
	v_mul_f32_e32 v1, v124, v9
	v_addc_co_u32_e32 v16, vcc, v16, v12, vcc
	v_fmac_f32_e32 v1, v123, v8
	global_store_dwordx2 v[15:16], v[13:14], off
	v_cvt_f64_f32_e32 v[12:13], v1
	v_mul_f32_e32 v1, v124, v8
	v_fma_f32 v1, v123, v9, -v1
	v_cvt_f64_f32_e32 v[8:9], v1
	v_cvt_f32_f64_e32 v1, v[4:5]
	v_mov_b32_e32 v14, s4
	v_mul_f64 v[4:5], v[12:13], s[0:1]
	v_add_co_u32_e32 v12, vcc, s5, v15
	v_addc_co_u32_e32 v13, vcc, v16, v14, vcc
	global_store_dwordx2 v[12:13], v[0:1], off
	v_mul_f32_e32 v0, v118, v7
	v_fmac_f32_e32 v0, v117, v6
	v_mul_f64 v[8:9], v[8:9], s[0:1]
	v_cvt_f64_f32_e32 v[0:1], v0
	v_mul_f32_e32 v6, v118, v6
	v_fma_f32 v6, v117, v7, -v6
	v_cvt_f32_f64_e32 v4, v[4:5]
	v_mul_f64 v[0:1], v[0:1], s[0:1]
	v_cvt_f64_f32_e32 v[6:7], v6
	v_mov_b32_e32 v14, s2
	v_cvt_f32_f64_e32 v5, v[8:9]
	v_mov_b32_e32 v9, s2
	v_add_co_u32_e32 v8, vcc, s3, v12
	v_addc_co_u32_e32 v9, vcc, v13, v9, vcc
	global_store_dwordx2 v[8:9], v[4:5], off
	v_mul_f64 v[4:5], v[6:7], s[0:1]
	v_cvt_f32_f64_e32 v0, v[0:1]
	v_mul_f32_e32 v1, v114, v11
	v_fmac_f32_e32 v1, v113, v10
	v_cvt_f64_f32_e32 v[6:7], v1
	v_mul_f32_e32 v1, v114, v10
	v_fma_f32 v1, v113, v11, -v1
	v_cvt_f64_f32_e32 v[10:11], v1
	v_cvt_f32_f64_e32 v1, v[4:5]
	v_mov_b32_e32 v4, s4
	v_mul_f64 v[12:13], v[6:7], s[0:1]
	v_mul_f64 v[10:11], v[10:11], s[0:1]
	v_add_co_u32_e32 v8, vcc, s5, v8
	v_addc_co_u32_e32 v9, vcc, v9, v4, vcc
	ds_read2_b64 v[4:7], v2 offset0:8 offset1:60
	global_store_dwordx2 v[8:9], v[0:1], off
	v_cvt_f32_f64_e32 v12, v[12:13]
	v_cvt_f32_f64_e32 v13, v[10:11]
	v_add_co_u32_e32 v8, vcc, s3, v8
	s_waitcnt lgkmcnt(0)
	v_mul_f32_e32 v0, v99, v5
	v_fmac_f32_e32 v0, v98, v4
	v_cvt_f64_f32_e32 v[10:11], v0
	v_mul_f32_e32 v0, v99, v4
	v_fma_f32 v0, v98, v5, -v0
	v_cvt_f64_f32_e32 v[4:5], v0
	ds_read2_b64 v[0:3], v3 offset0:120 offset1:172
	v_addc_co_u32_e32 v9, vcc, v9, v14, vcc
	v_mul_f64 v[10:11], v[10:11], s[0:1]
	v_mul_f64 v[4:5], v[4:5], s[0:1]
	global_store_dwordx2 v[8:9], v[12:13], off
	s_waitcnt lgkmcnt(0)
	v_mul_f32_e32 v12, v103, v1
	v_fmac_f32_e32 v12, v102, v0
	v_mul_f32_e32 v0, v103, v0
	v_fma_f32 v0, v102, v1, -v0
	v_cvt_f64_f32_e32 v[12:13], v12
	v_cvt_f64_f32_e32 v[0:1], v0
	v_cvt_f32_f64_e32 v10, v[10:11]
	v_cvt_f32_f64_e32 v11, v[4:5]
	v_mul_f64 v[4:5], v[12:13], s[0:1]
	v_mul_f64 v[0:1], v[0:1], s[0:1]
	v_mov_b32_e32 v12, s4
	v_add_co_u32_e32 v8, vcc, s5, v8
	v_addc_co_u32_e32 v9, vcc, v9, v12, vcc
	global_store_dwordx2 v[8:9], v[10:11], off
	v_cvt_f32_f64_e32 v4, v[4:5]
	v_cvt_f32_f64_e32 v5, v[0:1]
	v_mul_f32_e32 v0, v97, v7
	v_fmac_f32_e32 v0, v96, v6
	v_mul_f32_e32 v6, v97, v6
	v_fma_f32 v6, v96, v7, -v6
	v_cvt_f64_f32_e32 v[0:1], v0
	v_cvt_f64_f32_e32 v[6:7], v6
	v_mov_b32_e32 v10, s2
	v_add_co_u32_e32 v8, vcc, s3, v8
	v_addc_co_u32_e32 v9, vcc, v9, v10, vcc
	global_store_dwordx2 v[8:9], v[4:5], off
	v_mul_f64 v[0:1], v[0:1], s[0:1]
	v_mul_f64 v[4:5], v[6:7], s[0:1]
	v_mul_f32_e32 v6, v101, v3
	v_fmac_f32_e32 v6, v100, v2
	v_mul_f32_e32 v2, v101, v2
	v_fma_f32 v2, v100, v3, -v2
	v_cvt_f64_f32_e32 v[6:7], v6
	v_cvt_f64_f32_e32 v[2:3], v2
	v_cvt_f32_f64_e32 v0, v[0:1]
	v_cvt_f32_f64_e32 v1, v[4:5]
	v_mul_f64 v[4:5], v[6:7], s[0:1]
	v_mul_f64 v[2:3], v[2:3], s[0:1]
	v_mov_b32_e32 v7, s4
	v_add_co_u32_e32 v6, vcc, s5, v8
	v_addc_co_u32_e32 v7, vcc, v9, v7, vcc
	global_store_dwordx2 v[6:7], v[0:1], off
	v_cvt_f32_f64_e32 v0, v[4:5]
	v_cvt_f32_f64_e32 v1, v[2:3]
	v_mov_b32_e32 v3, s2
	v_add_co_u32_e32 v2, vcc, s3, v6
	v_addc_co_u32_e32 v3, vcc, v7, v3, vcc
	global_store_dwordx2 v[2:3], v[0:1], off
.LBB0_10:
	s_endpgm
	.section	.rodata,"a",@progbits
	.p2align	6, 0x0
	.amdhsa_kernel bluestein_single_back_len1248_dim1_sp_op_CI_CI
		.amdhsa_group_segment_fixed_size 9984
		.amdhsa_private_segment_fixed_size 96
		.amdhsa_kernarg_size 104
		.amdhsa_user_sgpr_count 6
		.amdhsa_user_sgpr_private_segment_buffer 1
		.amdhsa_user_sgpr_dispatch_ptr 0
		.amdhsa_user_sgpr_queue_ptr 0
		.amdhsa_user_sgpr_kernarg_segment_ptr 1
		.amdhsa_user_sgpr_dispatch_id 0
		.amdhsa_user_sgpr_flat_scratch_init 0
		.amdhsa_user_sgpr_private_segment_size 0
		.amdhsa_uses_dynamic_stack 0
		.amdhsa_system_sgpr_private_segment_wavefront_offset 1
		.amdhsa_system_sgpr_workgroup_id_x 1
		.amdhsa_system_sgpr_workgroup_id_y 0
		.amdhsa_system_sgpr_workgroup_id_z 0
		.amdhsa_system_sgpr_workgroup_info 0
		.amdhsa_system_vgpr_workitem_id 0
		.amdhsa_next_free_vgpr 256
		.amdhsa_next_free_sgpr 24
		.amdhsa_reserve_vcc 1
		.amdhsa_reserve_flat_scratch 0
		.amdhsa_float_round_mode_32 0
		.amdhsa_float_round_mode_16_64 0
		.amdhsa_float_denorm_mode_32 3
		.amdhsa_float_denorm_mode_16_64 3
		.amdhsa_dx10_clamp 1
		.amdhsa_ieee_mode 1
		.amdhsa_fp16_overflow 0
		.amdhsa_exception_fp_ieee_invalid_op 0
		.amdhsa_exception_fp_denorm_src 0
		.amdhsa_exception_fp_ieee_div_zero 0
		.amdhsa_exception_fp_ieee_overflow 0
		.amdhsa_exception_fp_ieee_underflow 0
		.amdhsa_exception_fp_ieee_inexact 0
		.amdhsa_exception_int_div_zero 0
	.end_amdhsa_kernel
	.text
.Lfunc_end0:
	.size	bluestein_single_back_len1248_dim1_sp_op_CI_CI, .Lfunc_end0-bluestein_single_back_len1248_dim1_sp_op_CI_CI
                                        ; -- End function
	.section	.AMDGPU.csdata,"",@progbits
; Kernel info:
; codeLenInByte = 29112
; NumSgprs: 28
; NumVgprs: 256
; ScratchSize: 96
; MemoryBound: 0
; FloatMode: 240
; IeeeMode: 1
; LDSByteSize: 9984 bytes/workgroup (compile time only)
; SGPRBlocks: 3
; VGPRBlocks: 63
; NumSGPRsForWavesPerEU: 28
; NumVGPRsForWavesPerEU: 256
; Occupancy: 1
; WaveLimiterHint : 1
; COMPUTE_PGM_RSRC2:SCRATCH_EN: 1
; COMPUTE_PGM_RSRC2:USER_SGPR: 6
; COMPUTE_PGM_RSRC2:TRAP_HANDLER: 0
; COMPUTE_PGM_RSRC2:TGID_X_EN: 1
; COMPUTE_PGM_RSRC2:TGID_Y_EN: 0
; COMPUTE_PGM_RSRC2:TGID_Z_EN: 0
; COMPUTE_PGM_RSRC2:TIDIG_COMP_CNT: 0
	.type	__hip_cuid_d13c636d3809a810,@object ; @__hip_cuid_d13c636d3809a810
	.section	.bss,"aw",@nobits
	.globl	__hip_cuid_d13c636d3809a810
__hip_cuid_d13c636d3809a810:
	.byte	0                               ; 0x0
	.size	__hip_cuid_d13c636d3809a810, 1

	.ident	"AMD clang version 19.0.0git (https://github.com/RadeonOpenCompute/llvm-project roc-6.4.0 25133 c7fe45cf4b819c5991fe208aaa96edf142730f1d)"
	.section	".note.GNU-stack","",@progbits
	.addrsig
	.addrsig_sym __hip_cuid_d13c636d3809a810
	.amdgpu_metadata
---
amdhsa.kernels:
  - .args:
      - .actual_access:  read_only
        .address_space:  global
        .offset:         0
        .size:           8
        .value_kind:     global_buffer
      - .actual_access:  read_only
        .address_space:  global
        .offset:         8
        .size:           8
        .value_kind:     global_buffer
      - .actual_access:  read_only
        .address_space:  global
        .offset:         16
        .size:           8
        .value_kind:     global_buffer
      - .actual_access:  read_only
        .address_space:  global
        .offset:         24
        .size:           8
        .value_kind:     global_buffer
      - .actual_access:  read_only
        .address_space:  global
        .offset:         32
        .size:           8
        .value_kind:     global_buffer
      - .offset:         40
        .size:           8
        .value_kind:     by_value
      - .address_space:  global
        .offset:         48
        .size:           8
        .value_kind:     global_buffer
      - .address_space:  global
        .offset:         56
        .size:           8
        .value_kind:     global_buffer
      - .address_space:  global
        .offset:         64
        .size:           8
        .value_kind:     global_buffer
      - .address_space:  global
        .offset:         72
        .size:           8
        .value_kind:     global_buffer
      - .offset:         80
        .size:           4
        .value_kind:     by_value
      - .address_space:  global
        .offset:         88
        .size:           8
        .value_kind:     global_buffer
      - .address_space:  global
        .offset:         96
        .size:           8
        .value_kind:     global_buffer
    .group_segment_fixed_size: 9984
    .kernarg_segment_align: 8
    .kernarg_segment_size: 104
    .language:       OpenCL C
    .language_version:
      - 2
      - 0
    .max_flat_workgroup_size: 52
    .name:           bluestein_single_back_len1248_dim1_sp_op_CI_CI
    .private_segment_fixed_size: 96
    .sgpr_count:     28
    .sgpr_spill_count: 0
    .symbol:         bluestein_single_back_len1248_dim1_sp_op_CI_CI.kd
    .uniform_work_group_size: 1
    .uses_dynamic_stack: false
    .vgpr_count:     256
    .vgpr_spill_count: 23
    .wavefront_size: 64
amdhsa.target:   amdgcn-amd-amdhsa--gfx906
amdhsa.version:
  - 1
  - 2
...

	.end_amdgpu_metadata
